;; amdgpu-corpus repo=ROCm/rocFFT kind=compiled arch=gfx906 opt=O3
	.text
	.amdgcn_target "amdgcn-amd-amdhsa--gfx906"
	.amdhsa_code_object_version 6
	.protected	fft_rtc_back_len195_factors_13_5_3_wgs_52_tpt_13_half_ip_CI_sbrr_dirReg ; -- Begin function fft_rtc_back_len195_factors_13_5_3_wgs_52_tpt_13_half_ip_CI_sbrr_dirReg
	.globl	fft_rtc_back_len195_factors_13_5_3_wgs_52_tpt_13_half_ip_CI_sbrr_dirReg
	.p2align	8
	.type	fft_rtc_back_len195_factors_13_5_3_wgs_52_tpt_13_half_ip_CI_sbrr_dirReg,@function
fft_rtc_back_len195_factors_13_5_3_wgs_52_tpt_13_half_ip_CI_sbrr_dirReg: ; @fft_rtc_back_len195_factors_13_5_3_wgs_52_tpt_13_half_ip_CI_sbrr_dirReg
; %bb.0:
	s_load_dwordx2 s[14:15], s[4:5], 0x18
	s_load_dwordx4 s[8:11], s[4:5], 0x0
	s_load_dwordx2 s[12:13], s[4:5], 0x50
	v_mul_u32_u24_e32 v1, 0x13b2, v0
	v_lshrrev_b32_e32 v9, 16, v1
	s_waitcnt lgkmcnt(0)
	s_load_dwordx2 s[2:3], s[14:15], 0x0
	v_cmp_lt_u64_e64 s[0:1], s[10:11], 2
	v_mov_b32_e32 v3, 0
	v_mov_b32_e32 v1, 0
	v_lshl_add_u32 v5, s6, 2, v9
	v_mov_b32_e32 v6, v3
	s_and_b64 vcc, exec, s[0:1]
	v_mov_b32_e32 v2, 0
	s_cbranch_vccnz .LBB0_8
; %bb.1:
	s_load_dwordx2 s[0:1], s[4:5], 0x10
	s_add_u32 s6, s14, 8
	s_addc_u32 s7, s15, 0
	v_mov_b32_e32 v1, 0
	v_mov_b32_e32 v2, 0
	s_waitcnt lgkmcnt(0)
	s_add_u32 s16, s0, 8
	s_addc_u32 s17, s1, 0
	s_mov_b64 s[18:19], 1
.LBB0_2:                                ; =>This Inner Loop Header: Depth=1
	s_load_dwordx2 s[20:21], s[16:17], 0x0
                                        ; implicit-def: $vgpr7_vgpr8
	s_waitcnt lgkmcnt(0)
	v_or_b32_e32 v4, s21, v6
	v_cmp_ne_u64_e32 vcc, 0, v[3:4]
	s_and_saveexec_b64 s[0:1], vcc
	s_xor_b64 s[22:23], exec, s[0:1]
	s_cbranch_execz .LBB0_4
; %bb.3:                                ;   in Loop: Header=BB0_2 Depth=1
	v_cvt_f32_u32_e32 v4, s20
	v_cvt_f32_u32_e32 v7, s21
	s_sub_u32 s0, 0, s20
	s_subb_u32 s1, 0, s21
	v_mac_f32_e32 v4, 0x4f800000, v7
	v_rcp_f32_e32 v4, v4
	v_mul_f32_e32 v4, 0x5f7ffffc, v4
	v_mul_f32_e32 v7, 0x2f800000, v4
	v_trunc_f32_e32 v7, v7
	v_mac_f32_e32 v4, 0xcf800000, v7
	v_cvt_u32_f32_e32 v7, v7
	v_cvt_u32_f32_e32 v4, v4
	v_mul_lo_u32 v8, s0, v7
	v_mul_hi_u32 v10, s0, v4
	v_mul_lo_u32 v12, s1, v4
	v_mul_lo_u32 v11, s0, v4
	v_add_u32_e32 v8, v10, v8
	v_add_u32_e32 v8, v8, v12
	v_mul_hi_u32 v10, v4, v11
	v_mul_lo_u32 v12, v4, v8
	v_mul_hi_u32 v14, v4, v8
	v_mul_hi_u32 v13, v7, v11
	v_mul_lo_u32 v11, v7, v11
	v_mul_hi_u32 v15, v7, v8
	v_add_co_u32_e32 v10, vcc, v10, v12
	v_addc_co_u32_e32 v12, vcc, 0, v14, vcc
	v_mul_lo_u32 v8, v7, v8
	v_add_co_u32_e32 v10, vcc, v10, v11
	v_addc_co_u32_e32 v10, vcc, v12, v13, vcc
	v_addc_co_u32_e32 v11, vcc, 0, v15, vcc
	v_add_co_u32_e32 v8, vcc, v10, v8
	v_addc_co_u32_e32 v10, vcc, 0, v11, vcc
	v_add_co_u32_e32 v4, vcc, v4, v8
	v_addc_co_u32_e32 v7, vcc, v7, v10, vcc
	v_mul_lo_u32 v8, s0, v7
	v_mul_hi_u32 v10, s0, v4
	v_mul_lo_u32 v11, s1, v4
	v_mul_lo_u32 v12, s0, v4
	v_add_u32_e32 v8, v10, v8
	v_add_u32_e32 v8, v8, v11
	v_mul_lo_u32 v13, v4, v8
	v_mul_hi_u32 v14, v4, v12
	v_mul_hi_u32 v15, v4, v8
	v_mul_hi_u32 v11, v7, v12
	v_mul_lo_u32 v12, v7, v12
	v_mul_hi_u32 v10, v7, v8
	v_add_co_u32_e32 v13, vcc, v14, v13
	v_addc_co_u32_e32 v14, vcc, 0, v15, vcc
	v_mul_lo_u32 v8, v7, v8
	v_add_co_u32_e32 v12, vcc, v13, v12
	v_addc_co_u32_e32 v11, vcc, v14, v11, vcc
	v_addc_co_u32_e32 v10, vcc, 0, v10, vcc
	v_add_co_u32_e32 v8, vcc, v11, v8
	v_addc_co_u32_e32 v10, vcc, 0, v10, vcc
	v_add_co_u32_e32 v4, vcc, v4, v8
	v_addc_co_u32_e32 v10, vcc, v7, v10, vcc
	v_mad_u64_u32 v[7:8], s[0:1], v5, v10, 0
	v_mul_hi_u32 v11, v5, v4
	v_add_co_u32_e32 v12, vcc, v11, v7
	v_addc_co_u32_e32 v13, vcc, 0, v8, vcc
	v_mad_u64_u32 v[7:8], s[0:1], v6, v4, 0
	v_mad_u64_u32 v[10:11], s[0:1], v6, v10, 0
	v_add_co_u32_e32 v4, vcc, v12, v7
	v_addc_co_u32_e32 v4, vcc, v13, v8, vcc
	v_addc_co_u32_e32 v7, vcc, 0, v11, vcc
	v_add_co_u32_e32 v4, vcc, v4, v10
	v_addc_co_u32_e32 v10, vcc, 0, v7, vcc
	v_mul_lo_u32 v11, s21, v4
	v_mul_lo_u32 v12, s20, v10
	v_mad_u64_u32 v[7:8], s[0:1], s20, v4, 0
	v_add3_u32 v8, v8, v12, v11
	v_sub_u32_e32 v11, v6, v8
	v_mov_b32_e32 v12, s21
	v_sub_co_u32_e32 v7, vcc, v5, v7
	v_subb_co_u32_e64 v11, s[0:1], v11, v12, vcc
	v_subrev_co_u32_e64 v12, s[0:1], s20, v7
	v_subbrev_co_u32_e64 v11, s[0:1], 0, v11, s[0:1]
	v_cmp_le_u32_e64 s[0:1], s21, v11
	v_cndmask_b32_e64 v13, 0, -1, s[0:1]
	v_cmp_le_u32_e64 s[0:1], s20, v12
	v_cndmask_b32_e64 v12, 0, -1, s[0:1]
	v_cmp_eq_u32_e64 s[0:1], s21, v11
	v_cndmask_b32_e64 v11, v13, v12, s[0:1]
	v_add_co_u32_e64 v12, s[0:1], 2, v4
	v_addc_co_u32_e64 v13, s[0:1], 0, v10, s[0:1]
	v_add_co_u32_e64 v14, s[0:1], 1, v4
	v_addc_co_u32_e64 v15, s[0:1], 0, v10, s[0:1]
	v_subb_co_u32_e32 v8, vcc, v6, v8, vcc
	v_cmp_ne_u32_e64 s[0:1], 0, v11
	v_cmp_le_u32_e32 vcc, s21, v8
	v_cndmask_b32_e64 v11, v15, v13, s[0:1]
	v_cndmask_b32_e64 v13, 0, -1, vcc
	v_cmp_le_u32_e32 vcc, s20, v7
	v_cndmask_b32_e64 v7, 0, -1, vcc
	v_cmp_eq_u32_e32 vcc, s21, v8
	v_cndmask_b32_e32 v7, v13, v7, vcc
	v_cmp_ne_u32_e32 vcc, 0, v7
	v_cndmask_b32_e64 v7, v14, v12, s[0:1]
	v_cndmask_b32_e32 v8, v10, v11, vcc
	v_cndmask_b32_e32 v7, v4, v7, vcc
.LBB0_4:                                ;   in Loop: Header=BB0_2 Depth=1
	s_andn2_saveexec_b64 s[0:1], s[22:23]
	s_cbranch_execz .LBB0_6
; %bb.5:                                ;   in Loop: Header=BB0_2 Depth=1
	v_cvt_f32_u32_e32 v4, s20
	s_sub_i32 s22, 0, s20
	v_rcp_iflag_f32_e32 v4, v4
	v_mul_f32_e32 v4, 0x4f7ffffe, v4
	v_cvt_u32_f32_e32 v4, v4
	v_mul_lo_u32 v7, s22, v4
	v_mul_hi_u32 v7, v4, v7
	v_add_u32_e32 v4, v4, v7
	v_mul_hi_u32 v4, v5, v4
	v_mul_lo_u32 v7, v4, s20
	v_add_u32_e32 v8, 1, v4
	v_sub_u32_e32 v7, v5, v7
	v_subrev_u32_e32 v10, s20, v7
	v_cmp_le_u32_e32 vcc, s20, v7
	v_cndmask_b32_e32 v7, v7, v10, vcc
	v_cndmask_b32_e32 v4, v4, v8, vcc
	v_add_u32_e32 v8, 1, v4
	v_cmp_le_u32_e32 vcc, s20, v7
	v_cndmask_b32_e32 v7, v4, v8, vcc
	v_mov_b32_e32 v8, v3
.LBB0_6:                                ;   in Loop: Header=BB0_2 Depth=1
	s_or_b64 exec, exec, s[0:1]
	v_mul_lo_u32 v4, v8, s20
	v_mul_lo_u32 v12, v7, s21
	v_mad_u64_u32 v[10:11], s[0:1], v7, s20, 0
	s_load_dwordx2 s[0:1], s[6:7], 0x0
	s_add_u32 s18, s18, 1
	v_add3_u32 v4, v11, v12, v4
	v_sub_co_u32_e32 v5, vcc, v5, v10
	v_subb_co_u32_e32 v4, vcc, v6, v4, vcc
	s_waitcnt lgkmcnt(0)
	v_mul_lo_u32 v4, s0, v4
	v_mul_lo_u32 v6, s1, v5
	v_mad_u64_u32 v[1:2], s[0:1], s0, v5, v[1:2]
	s_addc_u32 s19, s19, 0
	s_add_u32 s6, s6, 8
	v_add3_u32 v2, v6, v2, v4
	v_mov_b32_e32 v4, s10
	v_mov_b32_e32 v5, s11
	s_addc_u32 s7, s7, 0
	v_cmp_ge_u64_e32 vcc, s[18:19], v[4:5]
	s_add_u32 s16, s16, 8
	s_addc_u32 s17, s17, 0
	s_cbranch_vccnz .LBB0_9
; %bb.7:                                ;   in Loop: Header=BB0_2 Depth=1
	v_mov_b32_e32 v5, v7
	v_mov_b32_e32 v6, v8
	s_branch .LBB0_2
.LBB0_8:
	v_mov_b32_e32 v8, v6
	v_mov_b32_e32 v7, v5
.LBB0_9:
	s_lshl_b64 s[0:1], s[10:11], 3
	s_add_u32 s0, s14, s0
	s_addc_u32 s1, s15, s1
	s_load_dwordx2 s[6:7], s[0:1], 0x0
	s_load_dwordx2 s[10:11], s[4:5], 0x20
	v_and_b32_e32 v3, 3, v9
                                        ; implicit-def: $vgpr35
	s_waitcnt lgkmcnt(0)
	v_mad_u64_u32 v[1:2], s[0:1], s6, v7, v[1:2]
	s_mov_b32 s0, 0x13b13b14
	v_mul_lo_u32 v4, s6, v8
	v_mul_lo_u32 v5, s7, v7
	v_mul_hi_u32 v6, v0, s0
	v_cmp_gt_u64_e32 vcc, s[10:11], v[7:8]
	v_cmp_le_u64_e64 s[0:1], s[10:11], v[7:8]
	v_add3_u32 v2, v5, v2, v4
	v_mul_u32_u24_e32 v4, 13, v6
	v_sub_u32_e32 v27, v0, v4
	v_add_u32_e32 v30, 13, v27
	s_and_saveexec_b64 s[4:5], s[0:1]
	s_xor_b64 s[0:1], exec, s[4:5]
; %bb.10:
	v_add_u32_e32 v35, 13, v27
; %bb.11:
	s_or_saveexec_b64 s[4:5], s[0:1]
	v_mul_u32_u24_e32 v3, 0xc3, v3
	v_lshlrev_b64 v[0:1], 2, v[1:2]
	v_lshlrev_b32_e32 v33, 2, v3
	v_lshlrev_b32_e32 v2, 2, v27
	v_add_u32_e32 v31, 26, v27
	v_add_u32_e32 v29, 39, v27
	;; [unrolled: 1-line block ×3, first 2 shown]
	s_xor_b64 exec, exec, s[4:5]
	s_cbranch_execz .LBB0_13
; %bb.12:
	v_mad_u64_u32 v[3:4], s[0:1], s2, v27, 0
	v_mov_b32_e32 v7, s13
	v_add_u32_e32 v15, 0x41, v27
	v_mad_u64_u32 v[4:5], s[0:1], s3, v27, v[4:5]
	v_mad_u64_u32 v[5:6], s[0:1], s2, v30, 0
	v_add_co_u32_e64 v42, s[0:1], s12, v0
	v_addc_co_u32_e64 v43, s[0:1], v7, v1, s[0:1]
	v_mad_u64_u32 v[6:7], s[0:1], s3, v30, v[6:7]
	v_mad_u64_u32 v[7:8], s[0:1], s2, v31, 0
	v_lshlrev_b64 v[3:4], 2, v[3:4]
	v_lshlrev_b64 v[5:6], 2, v[5:6]
	v_add_co_u32_e64 v3, s[0:1], v42, v3
	v_addc_co_u32_e64 v4, s[0:1], v43, v4, s[0:1]
	v_mad_u64_u32 v[8:9], s[0:1], s3, v31, v[8:9]
	v_mad_u64_u32 v[9:10], s[0:1], s2, v29, 0
	v_add_co_u32_e64 v5, s[0:1], v42, v5
	v_addc_co_u32_e64 v6, s[0:1], v43, v6, s[0:1]
	v_mad_u64_u32 v[10:11], s[0:1], s3, v29, v[10:11]
	v_mad_u64_u32 v[11:12], s[0:1], s2, v28, 0
	v_lshlrev_b64 v[7:8], 2, v[7:8]
	v_lshlrev_b64 v[9:10], 2, v[9:10]
	v_add_co_u32_e64 v7, s[0:1], v42, v7
	v_addc_co_u32_e64 v8, s[0:1], v43, v8, s[0:1]
	v_mad_u64_u32 v[12:13], s[0:1], s3, v28, v[12:13]
	v_mad_u64_u32 v[13:14], s[0:1], s2, v15, 0
	v_add_co_u32_e64 v9, s[0:1], v42, v9
	v_addc_co_u32_e64 v10, s[0:1], v43, v10, s[0:1]
	v_mad_u64_u32 v[14:15], s[0:1], s3, v15, v[14:15]
	v_add_u32_e32 v17, 0x4e, v27
	v_mad_u64_u32 v[15:16], s[0:1], s2, v17, 0
	v_lshlrev_b64 v[11:12], 2, v[11:12]
	v_add_u32_e32 v19, 0x5b, v27
	v_add_co_u32_e64 v11, s[0:1], v42, v11
	v_addc_co_u32_e64 v12, s[0:1], v43, v12, s[0:1]
	v_mad_u64_u32 v[16:17], s[0:1], s3, v17, v[16:17]
	v_mad_u64_u32 v[17:18], s[0:1], s2, v19, 0
	v_lshlrev_b64 v[13:14], 2, v[13:14]
	v_add_u32_e32 v21, 0x68, v27
	v_add_co_u32_e64 v13, s[0:1], v42, v13
	v_addc_co_u32_e64 v14, s[0:1], v43, v14, s[0:1]
	v_mad_u64_u32 v[18:19], s[0:1], s3, v19, v[18:19]
	;; [unrolled: 6-line block ×6, first 2 shown]
	v_mad_u64_u32 v[35:36], s[0:1], s2, v37, 0
	v_lshlrev_b64 v[23:24], 2, v[23:24]
	v_add_u32_e32 v39, 0xa9, v27
	v_add_co_u32_e64 v23, s[0:1], v42, v23
	v_mov_b32_e32 v32, v36
	v_addc_co_u32_e64 v24, s[0:1], v43, v24, s[0:1]
	v_mad_u64_u32 v[36:37], s[0:1], s3, v37, v[32:33]
	v_mad_u64_u32 v[37:38], s[0:1], s2, v39, 0
	v_mov_b32_e32 v26, v34
	v_lshlrev_b64 v[25:26], 2, v[25:26]
	v_mov_b32_e32 v32, v38
	v_add_co_u32_e64 v25, s[0:1], v42, v25
	v_addc_co_u32_e64 v26, s[0:1], v43, v26, s[0:1]
	v_mad_u64_u32 v[38:39], s[0:1], s3, v39, v[32:33]
	v_add_u32_e32 v41, 0xb6, v27
	v_mad_u64_u32 v[39:40], s[0:1], s2, v41, 0
	v_lshlrev_b64 v[34:35], 2, v[35:36]
	v_lshlrev_b64 v[36:37], 2, v[37:38]
	v_add_co_u32_e64 v34, s[0:1], v42, v34
	v_mov_b32_e32 v32, v40
	v_addc_co_u32_e64 v35, s[0:1], v43, v35, s[0:1]
	v_mad_u64_u32 v[40:41], s[0:1], s3, v41, v[32:33]
	v_add_co_u32_e64 v36, s[0:1], v42, v36
	v_lshlrev_b64 v[38:39], 2, v[39:40]
	v_addc_co_u32_e64 v37, s[0:1], v43, v37, s[0:1]
	v_add_co_u32_e64 v38, s[0:1], v42, v38
	v_addc_co_u32_e64 v39, s[0:1], v43, v39, s[0:1]
	global_load_dword v32, v[3:4], off
	global_load_dword v40, v[5:6], off
	;; [unrolled: 1-line block ×15, first 2 shown]
	v_add3_u32 v3, 0, v33, v2
	v_mov_b32_e32 v35, v30
	s_waitcnt vmcnt(13)
	ds_write2_b32 v3, v32, v40 offset1:13
	s_waitcnt vmcnt(11)
	ds_write2_b32 v3, v41, v42 offset0:26 offset1:39
	s_waitcnt vmcnt(9)
	ds_write2_b32 v3, v43, v44 offset0:52 offset1:65
	;; [unrolled: 2-line block ×6, first 2 shown]
	s_waitcnt vmcnt(0)
	ds_write_b32 v3, v53 offset:728
.LBB0_13:
	s_or_b64 exec, exec, s[4:5]
	v_add_u32_e32 v3, 0, v2
	v_add_u32_e32 v37, 0, v33
	;; [unrolled: 1-line block ×3, first 2 shown]
	s_waitcnt lgkmcnt(0)
	; wave barrier
	s_waitcnt lgkmcnt(0)
	v_add_u32_e32 v32, v37, v2
	ds_read2_b32 v[3:4], v34 offset0:13 offset1:15
	ds_read2_b32 v[19:20], v34 offset0:28 offset1:30
	;; [unrolled: 1-line block ×9, first 2 shown]
	ds_read_b32 v36, v34 offset:772
	ds_read_b32 v38, v32
	ds_read2_b32 v[21:22], v34 offset0:148 offset1:150
	ds_read2_b32 v[23:24], v34 offset0:163 offset1:165
	;; [unrolled: 1-line block ×3, first 2 shown]
	s_mov_b32 s26, 0xb770
	s_waitcnt lgkmcnt(3)
	v_pk_add_f16 v39, v38, v4
	v_pk_add_f16 v39, v39, v20
	;; [unrolled: 1-line block ×9, first 2 shown]
	s_waitcnt lgkmcnt(2)
	v_pk_add_f16 v39, v39, v22
	s_waitcnt lgkmcnt(1)
	v_pk_add_f16 v39, v39, v24
	;; [unrolled: 2-line block ×3, first 2 shown]
	v_pk_add_f16 v39, v4, v26 neg_lo:[0,1] neg_hi:[0,1]
	v_pk_add_f16 v40, v26, v4
	v_pk_mul_f16 v26, v39, s26 op_sel_hi:[1,0]
	s_movk_i32 s10, 0x3b15
	v_pk_fma_f16 v4, v40, s10, v26 op_sel:[0,0,1] op_sel_hi:[1,0,0]
	v_pk_fma_f16 v26, v40, s10, v26 op_sel:[0,0,1] op_sel_hi:[1,0,0] neg_lo:[0,0,1] neg_hi:[0,0,1]
	s_mov_b32 s6, 0xffff
	v_bfi_b32 v41, s6, v4, v26
	s_mov_b32 s17, 0xba95
	v_pk_add_f16 v44, v38, v41
	v_mul_f16_sdwa v41, v39, s17 dst_sel:DWORD dst_unused:UNUSED_PAD src0_sel:WORD_1 src1_sel:DWORD
	s_movk_i32 s14, 0x388b
	v_fma_f16 v42, v40, s14, v41
	v_add_f16_e32 v45, v38, v42
	v_mul_f16_sdwa v42, v40, s14 dst_sel:DWORD dst_unused:UNUSED_PAD src0_sel:WORD_1 src1_sel:DWORD
	v_fma_f16 v41, v40, s14, -v41
	v_add_f16_e32 v47, v38, v41
	v_fma_f16 v41, v39, s17, v42
	s_mov_b32 s21, 0xbbf1
	s_movk_i32 s7, 0x3a95
	v_add_f16_sdwa v48, v38, v41 dst_sel:DWORD dst_unused:UNUSED_PAD src0_sel:WORD_1 src1_sel:DWORD
	v_mul_f16_sdwa v41, v39, s21 dst_sel:DWORD dst_unused:UNUSED_PAD src0_sel:WORD_1 src1_sel:DWORD
	s_movk_i32 s15, 0x2fb7
	v_fma_f16 v46, v39, s7, v42
	v_fma_f16 v42, v40, s15, v41
	v_add_f16_e32 v49, v38, v42
	v_mul_f16_sdwa v42, v40, s15 dst_sel:DWORD dst_unused:UNUSED_PAD src0_sel:WORD_1 src1_sel:DWORD
	v_fma_f16 v41, v40, s15, -v41
	v_add_f16_e32 v51, v38, v41
	v_fma_f16 v41, v39, s21, v42
	s_mov_b32 s16, 0xbb7b
	s_movk_i32 s11, 0x3bf1
	v_add_f16_sdwa v52, v38, v41 dst_sel:DWORD dst_unused:UNUSED_PAD src0_sel:WORD_1 src1_sel:DWORD
	v_mul_f16_sdwa v41, v39, s16 dst_sel:DWORD dst_unused:UNUSED_PAD src0_sel:WORD_1 src1_sel:DWORD
	s_mov_b32 s18, 0xb5ac
	v_fma_f16 v50, v39, s11, v42
	v_fma_f16 v42, v40, s18, v41
	v_add_f16_e32 v53, v38, v42
	v_mul_f16_sdwa v42, v40, s18 dst_sel:DWORD dst_unused:UNUSED_PAD src0_sel:WORD_1 src1_sel:DWORD
	v_fma_f16 v41, v40, s18, -v41
	v_add_f16_e32 v55, v38, v41
	v_fma_f16 v41, v39, s16, v42
	s_mov_b32 s19, 0xb94e
	s_movk_i32 s24, 0x3b7b
	v_add_f16_sdwa v56, v38, v41 dst_sel:DWORD dst_unused:UNUSED_PAD src0_sel:WORD_1 src1_sel:DWORD
	v_mul_f16_sdwa v41, v39, s19 dst_sel:DWORD dst_unused:UNUSED_PAD src0_sel:WORD_1 src1_sel:DWORD
	s_mov_b32 s20, 0xb9fd
	v_fma_f16 v54, v39, s24, v42
	v_fma_f16 v42, v40, s20, v41
	v_add_f16_e32 v57, v38, v42
	v_mul_f16_sdwa v42, v40, s20 dst_sel:DWORD dst_unused:UNUSED_PAD src0_sel:WORD_1 src1_sel:DWORD
	v_fma_f16 v41, v40, s20, -v41
	v_add_f16_e32 v59, v38, v41
	v_fma_f16 v41, v39, s19, v42
	s_movk_i32 s23, 0x394e
	v_add_f16_sdwa v60, v38, v41 dst_sel:DWORD dst_unused:UNUSED_PAD src0_sel:WORD_1 src1_sel:DWORD
	v_pk_add_f16 v41, v20, v24 neg_lo:[0,1] neg_hi:[0,1]
	v_fma_f16 v58, v39, s23, v42
	v_pk_add_f16 v42, v24, v20
	v_pk_mul_f16 v24, v41, s17 op_sel_hi:[1,0]
	v_pk_fma_f16 v20, v42, s14, v24 op_sel:[0,0,1] op_sel_hi:[1,0,0]
	v_pk_fma_f16 v24, v42, s14, v24 op_sel:[0,0,1] op_sel_hi:[1,0,0] neg_lo:[0,0,1] neg_hi:[0,0,1]
	v_bfi_b32 v61, s6, v20, v24
	v_pk_add_f16 v61, v61, v44
	v_mul_f16_sdwa v44, v41, s16 dst_sel:DWORD dst_unused:UNUSED_PAD src0_sel:WORD_1 src1_sel:DWORD
	v_fma_f16 v62, v42, s18, v44
	v_add_f16_e32 v62, v62, v45
	v_mul_f16_sdwa v45, v42, s18 dst_sel:DWORD dst_unused:UNUSED_PAD src0_sel:WORD_1 src1_sel:DWORD
	v_fma_f16 v44, v42, s18, -v44
	v_add_f16_e32 v47, v44, v47
	v_fma_f16 v44, v41, s16, v45
	s_mov_b32 s22, 0xb3a8
	v_add_f16_e32 v48, v44, v48
	v_mul_f16_sdwa v44, v41, s22 dst_sel:DWORD dst_unused:UNUSED_PAD src0_sel:WORD_1 src1_sel:DWORD
	s_mov_b32 s25, 0xbbc4
	v_fma_f16 v63, v41, s24, v45
	v_fma_f16 v45, v42, s25, v44
	v_add_f16_e32 v49, v45, v49
	v_mul_f16_sdwa v45, v42, s25 dst_sel:DWORD dst_unused:UNUSED_PAD src0_sel:WORD_1 src1_sel:DWORD
	v_fma_f16 v44, v42, s25, -v44
	v_add_f16_e32 v51, v44, v51
	v_fma_f16 v44, v41, s22, v45
	v_add_f16_sdwa v46, v38, v46 dst_sel:DWORD dst_unused:UNUSED_PAD src0_sel:WORD_1 src1_sel:DWORD
	s_movk_i32 s28, 0x33a8
	v_add_f16_e32 v52, v44, v52
	v_mul_f16_sdwa v44, v41, s23 dst_sel:DWORD dst_unused:UNUSED_PAD src0_sel:WORD_1 src1_sel:DWORD
	v_add_f16_e32 v46, v63, v46
	v_fma_f16 v63, v41, s28, v45
	v_fma_f16 v45, v42, s20, v44
	v_add_f16_e32 v53, v45, v53
	v_mul_f16_sdwa v45, v42, s20 dst_sel:DWORD dst_unused:UNUSED_PAD src0_sel:WORD_1 src1_sel:DWORD
	v_fma_f16 v44, v42, s20, -v44
	v_add_f16_e32 v55, v44, v55
	v_fma_f16 v44, v41, s23, v45
	v_add_f16_sdwa v50, v38, v50 dst_sel:DWORD dst_unused:UNUSED_PAD src0_sel:WORD_1 src1_sel:DWORD
	v_add_f16_e32 v56, v44, v56
	v_mul_f16_sdwa v44, v41, s11 dst_sel:DWORD dst_unused:UNUSED_PAD src0_sel:WORD_1 src1_sel:DWORD
	v_add_f16_e32 v50, v63, v50
	v_fma_f16 v63, v41, s19, v45
	v_fma_f16 v45, v42, s15, v44
	v_add_f16_e32 v57, v45, v57
	v_mul_f16_sdwa v45, v42, s15 dst_sel:DWORD dst_unused:UNUSED_PAD src0_sel:WORD_1 src1_sel:DWORD
	v_fma_f16 v44, v42, s15, -v44
	v_add_f16_e32 v59, v44, v59
	v_fma_f16 v44, v41, s11, v45
	v_add_f16_sdwa v54, v38, v54 dst_sel:DWORD dst_unused:UNUSED_PAD src0_sel:WORD_1 src1_sel:DWORD
	v_add_f16_e32 v60, v44, v60
	v_pk_add_f16 v44, v16, v22 neg_lo:[0,1] neg_hi:[0,1]
	v_add_f16_e32 v54, v63, v54
	v_fma_f16 v63, v41, s21, v45
	v_pk_add_f16 v45, v22, v16
	v_pk_mul_f16 v22, v44, s21 op_sel_hi:[1,0]
	v_add_f16_sdwa v58, v38, v58 dst_sel:DWORD dst_unused:UNUSED_PAD src0_sel:WORD_1 src1_sel:DWORD
	v_pk_fma_f16 v16, v45, s15, v22 op_sel:[0,0,1] op_sel_hi:[1,0,0]
	v_pk_fma_f16 v22, v45, s15, v22 op_sel:[0,0,1] op_sel_hi:[1,0,0] neg_lo:[0,0,1] neg_hi:[0,0,1]
	v_add_f16_e32 v58, v63, v58
	v_bfi_b32 v63, s6, v16, v22
	v_pk_add_f16 v61, v63, v61
	v_mul_f16_sdwa v63, v44, s22 dst_sel:DWORD dst_unused:UNUSED_PAD src0_sel:WORD_1 src1_sel:DWORD
	v_fma_f16 v64, v45, s25, v63
	v_add_f16_e32 v62, v64, v62
	v_mul_f16_sdwa v64, v45, s25 dst_sel:DWORD dst_unused:UNUSED_PAD src0_sel:WORD_1 src1_sel:DWORD
	v_fma_f16 v63, v45, s25, -v63
	v_add_f16_e32 v47, v63, v47
	v_fma_f16 v63, v44, s22, v64
	v_add_f16_e32 v48, v63, v48
	v_mul_f16_sdwa v63, v44, s24 dst_sel:DWORD dst_unused:UNUSED_PAD src0_sel:WORD_1 src1_sel:DWORD
	v_fma_f16 v65, v44, s28, v64
	v_fma_f16 v64, v45, s18, v63
	v_add_f16_e32 v49, v64, v49
	v_mul_f16_sdwa v64, v45, s18 dst_sel:DWORD dst_unused:UNUSED_PAD src0_sel:WORD_1 src1_sel:DWORD
	v_fma_f16 v63, v45, s18, -v63
	v_add_f16_e32 v51, v63, v51
	v_fma_f16 v63, v44, s24, v64
	s_movk_i32 s27, 0x3770
	v_add_f16_e32 v52, v63, v52
	v_mul_f16_sdwa v63, v44, s27 dst_sel:DWORD dst_unused:UNUSED_PAD src0_sel:WORD_1 src1_sel:DWORD
	v_add_f16_e32 v46, v65, v46
	v_fma_f16 v65, v44, s16, v64
	v_fma_f16 v64, v45, s10, v63
	v_add_f16_e32 v53, v64, v53
	v_mul_f16_sdwa v64, v45, s10 dst_sel:DWORD dst_unused:UNUSED_PAD src0_sel:WORD_1 src1_sel:DWORD
	v_fma_f16 v63, v45, s10, -v63
	v_add_f16_e32 v55, v63, v55
	v_fma_f16 v63, v44, s27, v64
	v_add_f16_e32 v56, v63, v56
	v_mul_f16_sdwa v63, v44, s17 dst_sel:DWORD dst_unused:UNUSED_PAD src0_sel:WORD_1 src1_sel:DWORD
	v_add_f16_e32 v50, v65, v50
	v_fma_f16 v65, v44, s26, v64
	v_fma_f16 v64, v45, s14, v63
	v_add_f16_e32 v57, v64, v57
	v_mul_f16_sdwa v64, v45, s14 dst_sel:DWORD dst_unused:UNUSED_PAD src0_sel:WORD_1 src1_sel:DWORD
	v_fma_f16 v63, v45, s14, -v63
	v_add_f16_e32 v54, v65, v54
	v_fma_f16 v65, v44, s7, v64
	v_add_f16_e32 v59, v63, v59
	v_fma_f16 v63, v44, s17, v64
	v_pk_add_f16 v64, v14, v18 neg_lo:[0,1] neg_hi:[0,1]
	v_add_f16_e32 v60, v63, v60
	v_pk_add_f16 v63, v18, v14
	v_pk_mul_f16 v18, v64, s16 op_sel_hi:[1,0]
	v_pk_fma_f16 v14, v63, s18, v18 op_sel:[0,0,1] op_sel_hi:[1,0,0]
	v_pk_fma_f16 v18, v63, s18, v18 op_sel:[0,0,1] op_sel_hi:[1,0,0] neg_lo:[0,0,1] neg_hi:[0,0,1]
	v_add_f16_e32 v58, v65, v58
	v_bfi_b32 v65, s6, v14, v18
	v_pk_add_f16 v61, v65, v61
	v_mul_f16_sdwa v65, v64, s23 dst_sel:DWORD dst_unused:UNUSED_PAD src0_sel:WORD_1 src1_sel:DWORD
	v_fma_f16 v66, v63, s20, v65
	v_add_f16_e32 v62, v66, v62
	v_mul_f16_sdwa v66, v63, s20 dst_sel:DWORD dst_unused:UNUSED_PAD src0_sel:WORD_1 src1_sel:DWORD
	v_fma_f16 v65, v63, s20, -v65
	v_add_f16_e32 v47, v65, v47
	v_fma_f16 v65, v64, s23, v66
	v_add_f16_e32 v48, v65, v48
	v_mul_f16_sdwa v65, v64, s27 dst_sel:DWORD dst_unused:UNUSED_PAD src0_sel:WORD_1 src1_sel:DWORD
	v_fma_f16 v67, v64, s19, v66
	v_fma_f16 v66, v63, s10, v65
	v_add_f16_e32 v49, v66, v49
	v_mul_f16_sdwa v66, v63, s10 dst_sel:DWORD dst_unused:UNUSED_PAD src0_sel:WORD_1 src1_sel:DWORD
	v_fma_f16 v65, v63, s10, -v65
	v_add_f16_e32 v51, v65, v51
	v_fma_f16 v65, v64, s27, v66
	v_add_f16_e32 v52, v65, v52
	v_mul_f16_sdwa v65, v64, s21 dst_sel:DWORD dst_unused:UNUSED_PAD src0_sel:WORD_1 src1_sel:DWORD
	v_add_f16_e32 v46, v67, v46
	v_fma_f16 v67, v64, s26, v66
	v_fma_f16 v66, v63, s15, v65
	v_add_f16_e32 v53, v66, v53
	v_mul_f16_sdwa v66, v63, s15 dst_sel:DWORD dst_unused:UNUSED_PAD src0_sel:WORD_1 src1_sel:DWORD
	v_fma_f16 v65, v63, s15, -v65
	v_add_f16_e32 v55, v65, v55
	v_fma_f16 v65, v64, s21, v66
	v_add_f16_e32 v56, v65, v56
	v_mul_f16_sdwa v65, v64, s28 dst_sel:DWORD dst_unused:UNUSED_PAD src0_sel:WORD_1 src1_sel:DWORD
	v_add_f16_e32 v50, v67, v50
	v_fma_f16 v67, v64, s11, v66
	v_fma_f16 v66, v63, s25, v65
	v_add_f16_e32 v57, v66, v57
	v_mul_f16_sdwa v66, v63, s25 dst_sel:DWORD dst_unused:UNUSED_PAD src0_sel:WORD_1 src1_sel:DWORD
	v_fma_f16 v65, v63, s25, -v65
	v_add_f16_e32 v59, v65, v59
	v_fma_f16 v65, v64, s28, v66
	v_add_f16_e32 v60, v65, v60
	v_pk_add_f16 v65, v10, v12
	v_pk_add_f16 v12, v12, v10 neg_lo:[0,1] neg_hi:[0,1]
	v_add_f16_e32 v54, v67, v54
	v_fma_f16 v67, v64, s22, v66
	v_pk_mul_f16 v66, v12, s19 op_sel_hi:[1,0]
	v_pk_fma_f16 v10, v65, s20, v66 op_sel:[0,0,1] op_sel_hi:[1,0,0]
	v_pk_fma_f16 v66, v65, s20, v66 op_sel:[0,0,1] op_sel_hi:[1,0,0] neg_lo:[0,0,1] neg_hi:[0,0,1]
	v_add_f16_e32 v58, v67, v58
	v_bfi_b32 v67, s6, v10, v66
	v_pk_add_f16 v61, v67, v61
	v_mul_f16_sdwa v67, v12, s11 dst_sel:DWORD dst_unused:UNUSED_PAD src0_sel:WORD_1 src1_sel:DWORD
	v_fma_f16 v68, v65, s15, v67
	v_add_f16_e32 v62, v68, v62
	v_mul_f16_sdwa v68, v65, s15 dst_sel:DWORD dst_unused:UNUSED_PAD src0_sel:WORD_1 src1_sel:DWORD
	v_fma_f16 v67, v65, s15, -v67
	v_add_f16_e32 v47, v67, v47
	v_fma_f16 v67, v12, s11, v68
	v_add_f16_e32 v48, v67, v48
	v_mul_f16_sdwa v67, v12, s17 dst_sel:DWORD dst_unused:UNUSED_PAD src0_sel:WORD_1 src1_sel:DWORD
	v_fma_f16 v69, v12, s21, v68
	v_fma_f16 v68, v65, s14, v67
	v_add_f16_e32 v49, v68, v49
	v_mul_f16_sdwa v68, v65, s14 dst_sel:DWORD dst_unused:UNUSED_PAD src0_sel:WORD_1 src1_sel:DWORD
	v_fma_f16 v67, v65, s14, -v67
	v_add_f16_e32 v51, v67, v51
	v_fma_f16 v67, v12, s17, v68
	v_add_f16_e32 v52, v67, v52
	v_mul_f16_sdwa v67, v12, s28 dst_sel:DWORD dst_unused:UNUSED_PAD src0_sel:WORD_1 src1_sel:DWORD
	v_add_f16_e32 v46, v69, v46
	v_fma_f16 v69, v12, s7, v68
	v_fma_f16 v68, v65, s25, v67
	v_add_f16_e32 v53, v68, v53
	v_mul_f16_sdwa v68, v65, s25 dst_sel:DWORD dst_unused:UNUSED_PAD src0_sel:WORD_1 src1_sel:DWORD
	v_fma_f16 v67, v65, s25, -v67
	v_add_f16_e32 v55, v67, v55
	v_fma_f16 v67, v12, s28, v68
	v_add_f16_e32 v56, v67, v56
	v_mul_f16_sdwa v67, v12, s27 dst_sel:DWORD dst_unused:UNUSED_PAD src0_sel:WORD_1 src1_sel:DWORD
	v_add_f16_e32 v50, v69, v50
	v_fma_f16 v69, v12, s22, v68
	v_fma_f16 v68, v65, s10, v67
	v_add_f16_e32 v57, v68, v57
	v_mul_f16_sdwa v68, v65, s10 dst_sel:DWORD dst_unused:UNUSED_PAD src0_sel:WORD_1 src1_sel:DWORD
	v_fma_f16 v67, v65, s10, -v67
	v_add_f16_e32 v59, v67, v59
	v_fma_f16 v67, v12, s27, v68
	v_add_f16_e32 v60, v67, v60
	v_pk_add_f16 v67, v6, v8
	v_pk_add_f16 v6, v8, v6 neg_lo:[0,1] neg_hi:[0,1]
	v_pk_mul_f16 v8, v6, s22 op_sel_hi:[1,0]
	v_add_f16_e32 v54, v69, v54
	v_fma_f16 v69, v12, s26, v68
	v_pk_fma_f16 v68, v67, s25, v8 op_sel:[0,0,1] op_sel_hi:[1,0,0]
	v_pk_fma_f16 v8, v67, s25, v8 op_sel:[0,0,1] op_sel_hi:[1,0,0] neg_lo:[0,0,1] neg_hi:[0,0,1]
	v_add_f16_e32 v58, v69, v58
	v_bfi_b32 v69, s6, v68, v8
	v_pk_add_f16 v61, v69, v61
	v_mul_f16_sdwa v69, v6, s27 dst_sel:DWORD dst_unused:UNUSED_PAD src0_sel:WORD_1 src1_sel:DWORD
	v_fma_f16 v70, v67, s10, v69
	v_add_f16_e32 v62, v70, v62
	v_mul_f16_sdwa v70, v67, s10 dst_sel:DWORD dst_unused:UNUSED_PAD src0_sel:WORD_1 src1_sel:DWORD
	v_fma_f16 v69, v67, s10, -v69
	v_add_f16_e32 v47, v69, v47
	v_fma_f16 v69, v6, s27, v70
	v_add_f16_e32 v48, v69, v48
	v_mul_f16_sdwa v69, v6, s19 dst_sel:DWORD dst_unused:UNUSED_PAD src0_sel:WORD_1 src1_sel:DWORD
	v_fma_f16 v71, v6, s26, v70
	v_fma_f16 v70, v67, s20, v69
	v_add_f16_e32 v49, v70, v49
	v_mul_f16_sdwa v70, v67, s20 dst_sel:DWORD dst_unused:UNUSED_PAD src0_sel:WORD_1 src1_sel:DWORD
	v_fma_f16 v69, v67, s20, -v69
	v_add_f16_e32 v51, v69, v51
	v_fma_f16 v69, v6, s19, v70
	v_add_f16_e32 v52, v69, v52
	v_mul_f16_sdwa v69, v6, s7 dst_sel:DWORD dst_unused:UNUSED_PAD src0_sel:WORD_1 src1_sel:DWORD
	v_add_f16_e32 v46, v71, v46
	v_fma_f16 v71, v6, s23, v70
	v_fma_f16 v70, v67, s14, v69
	v_add_f16_e32 v53, v70, v53
	v_mul_f16_sdwa v70, v67, s14 dst_sel:DWORD dst_unused:UNUSED_PAD src0_sel:WORD_1 src1_sel:DWORD
	v_fma_f16 v69, v67, s14, -v69
	v_add_f16_e32 v55, v69, v55
	v_fma_f16 v69, v6, s7, v70
	v_add_f16_e32 v56, v69, v56
	v_mul_f16_sdwa v69, v6, s16 dst_sel:DWORD dst_unused:UNUSED_PAD src0_sel:WORD_1 src1_sel:DWORD
	v_add_f16_e32 v50, v71, v50
	v_fma_f16 v71, v6, s17, v70
	v_fma_f16 v70, v67, s18, v69
	v_add_f16_e32 v57, v70, v57
	v_mul_f16_sdwa v70, v67, s18 dst_sel:DWORD dst_unused:UNUSED_PAD src0_sel:WORD_1 src1_sel:DWORD
	v_mad_u32_u24 v37, v27, 52, v37
	v_add_f16_e32 v54, v71, v54
	v_fma_f16 v71, v6, s24, v70
	v_add_f16_e32 v58, v71, v58
	s_waitcnt lgkmcnt(0)
	; wave barrier
	ds_write2_b32 v37, v43, v61 offset1:1
	v_pack_b32_f16 v43, v49, v50
	v_pack_b32_f16 v46, v62, v46
	ds_write2_b32 v37, v46, v43 offset0:2 offset1:3
	v_pack_b32_f16 v43, v57, v58
	v_pack_b32_f16 v46, v53, v54
	v_pk_mul_f16 v40, v40, s25 op_sel_hi:[1,0]
	ds_write2_b32 v37, v46, v43 offset0:4 offset1:5
	v_pk_fma_f16 v43, v39, s22, v40 op_sel:[0,0,1] op_sel_hi:[1,0,0]
	v_pk_fma_f16 v39, v39, s22, v40 op_sel:[0,0,1] op_sel_hi:[1,0,0] neg_lo:[1,0,0] neg_hi:[1,0,0]
	v_alignbit_b32 v40, s0, v38, 16
	v_pk_mul_f16 v42, v42, s10 op_sel_hi:[1,0]
	v_alignbit_b32 v46, s0, v43, 16
	v_pk_add_f16 v39, v38, v39 op_sel:[1,0] op_sel_hi:[0,1]
	v_pk_add_f16 v40, v40, v43
	v_pk_fma_f16 v43, v41, s27, v42 op_sel:[0,0,1] op_sel_hi:[1,0,0]
	v_pk_fma_f16 v41, v41, s27, v42 op_sel:[0,0,1] op_sel_hi:[1,0,0] neg_lo:[1,0,0] neg_hi:[1,0,0]
	v_pk_add_f16 v39, v41, v39
	v_pk_mul_f16 v41, v45, s20 op_sel_hi:[1,0]
	v_pk_fma_f16 v42, v44, s19, v41 op_sel:[0,0,1] op_sel_hi:[1,0,0]
	v_pk_fma_f16 v41, v44, s19, v41 op_sel:[0,0,1] op_sel_hi:[1,0,0] neg_lo:[1,0,0] neg_hi:[1,0,0]
	v_pk_add_f16 v40, v43, v40
	v_pk_add_f16 v39, v41, v39
	v_pk_mul_f16 v41, v63, s14 op_sel_hi:[1,0]
	v_alignbit_b32 v49, s0, v43, 16
	v_alignbit_b32 v43, s0, v42, 16
	v_pk_add_f16 v40, v42, v40
	v_pk_fma_f16 v42, v64, s7, v41 op_sel:[0,0,1] op_sel_hi:[1,0,0]
	v_pk_fma_f16 v41, v64, s7, v41 op_sel:[0,0,1] op_sel_hi:[1,0,0] neg_lo:[1,0,0] neg_hi:[1,0,0]
	v_pk_add_f16 v46, v38, v46
	v_pk_add_f16 v39, v41, v39
	v_pk_mul_f16 v41, v65, s18 op_sel_hi:[1,0]
	v_pk_add_f16 v46, v49, v46
	v_alignbit_b32 v44, s0, v42, 16
	v_pk_add_f16 v40, v42, v40
	v_pk_fma_f16 v42, v12, s16, v41 op_sel:[0,0,1] op_sel_hi:[1,0,0]
	v_pk_fma_f16 v12, v12, s16, v41 op_sel:[0,0,1] op_sel_hi:[1,0,0] neg_lo:[1,0,0] neg_hi:[1,0,0]
	v_pk_add_f16 v43, v43, v46
	v_pk_add_f16 v12, v12, v39
	;; [unrolled: 1-line block ×3, first 2 shown]
	v_pk_mul_f16 v40, v67, s15 op_sel_hi:[1,0]
	v_fma_f16 v69, v67, s18, -v69
	v_pk_add_f16 v43, v44, v43
	v_alignbit_b32 v44, s0, v42, 16
	v_pk_fma_f16 v41, v6, s11, v40 op_sel:[0,0,1] op_sel_hi:[1,0,0]
	v_add_f16_e32 v59, v69, v59
	v_fma_f16 v69, v6, s16, v70
	v_pk_add_f16 v43, v44, v43
	v_alignbit_b32 v42, s0, v41, 16
	v_pk_fma_f16 v6, v6, s11, v40 op_sel:[0,0,1] op_sel_hi:[1,0,0] neg_lo:[1,0,0] neg_hi:[1,0,0]
	v_pk_add_f16 v42, v42, v43
	v_pk_add_f16 v6, v6, v12
	;; [unrolled: 1-line block ×3, first 2 shown]
	v_add_f16_e32 v60, v69, v60
	v_alignbit_b32 v12, v12, v6, 16
	v_pack_b32_f16 v6, v42, v6
	ds_write2_b32 v37, v6, v12 offset0:6 offset1:7
	v_pack_b32_f16 v6, v55, v56
	v_pack_b32_f16 v12, v59, v60
	ds_write2_b32 v37, v12, v6 offset0:8 offset1:9
	v_pack_b32_f16 v6, v47, v48
	v_pack_b32_f16 v12, v51, v52
	v_bfi_b32 v4, s6, v26, v4
	ds_write2_b32 v37, v12, v6 offset0:10 offset1:11
	v_pk_add_f16 v4, v38, v4
	v_bfi_b32 v6, s6, v24, v20
	v_pk_add_f16 v4, v6, v4
	v_bfi_b32 v6, s6, v22, v16
	;; [unrolled: 2-line block ×5, first 2 shown]
	v_pk_add_f16 v4, v6, v4
	v_cmp_gt_u32_e64 s[0:1], 2, v27
	ds_write_b32 v37, v4 offset:48
	s_and_saveexec_b64 s[4:5], s[0:1]
	s_cbranch_execz .LBB0_15
; %bb.14:
	v_pk_add_f16 v4, v3, v19
	v_pk_add_f16 v4, v4, v15
	;; [unrolled: 1-line block ×9, first 2 shown]
	v_pk_add_f16 v8, v19, v36 neg_lo:[0,1] neg_hi:[0,1]
	v_pk_add_f16 v10, v25, v15
	v_pk_add_f16 v16, v17, v7
	v_pk_add_f16 v7, v7, v17 neg_lo:[0,1] neg_hi:[0,1]
	v_pk_add_f16 v17, v9, v5
	v_pk_add_f16 v5, v5, v9 neg_lo:[0,1] neg_hi:[0,1]
	v_mul_f16_sdwa v9, v6, s20 dst_sel:DWORD dst_unused:UNUSED_PAD src0_sel:WORD_1 src1_sel:DWORD
	v_pk_add_f16 v12, v15, v25 neg_lo:[0,1] neg_hi:[0,1]
	v_fma_f16 v18, v8, s23, v9
	v_mul_f16_sdwa v19, v10, s15 dst_sel:DWORD dst_unused:UNUSED_PAD src0_sel:WORD_1 src1_sel:DWORD
	v_pk_add_f16 v14, v23, v13
	v_add_f16_sdwa v18, v3, v18 dst_sel:DWORD dst_unused:UNUSED_PAD src0_sel:WORD_1 src1_sel:DWORD
	v_fma_f16 v20, v12, s21, v19
	v_pk_add_f16 v13, v13, v23 neg_lo:[0,1] neg_hi:[0,1]
	v_add_f16_e32 v18, v20, v18
	v_mul_f16_sdwa v20, v14, s14 dst_sel:DWORD dst_unused:UNUSED_PAD src0_sel:WORD_1 src1_sel:DWORD
	v_pk_add_f16 v4, v4, v21
	v_pk_add_f16 v15, v21, v11
	v_pk_add_f16 v11, v11, v21 neg_lo:[0,1] neg_hi:[0,1]
	v_fma_f16 v21, v13, s7, v20
	v_add_f16_e32 v18, v21, v18
	v_mul_f16_sdwa v21, v15, s25 dst_sel:DWORD dst_unused:UNUSED_PAD src0_sel:WORD_1 src1_sel:DWORD
	v_fma_f16 v22, v11, s22, v21
	v_add_f16_e32 v18, v22, v18
	v_mul_f16_sdwa v22, v16, s10 dst_sel:DWORD dst_unused:UNUSED_PAD src0_sel:WORD_1 src1_sel:DWORD
	v_pk_add_f16 v4, v4, v23
	v_fma_f16 v23, v7, s26, v22
	v_add_f16_e32 v18, v23, v18
	v_mul_f16_sdwa v23, v17, s18 dst_sel:DWORD dst_unused:UNUSED_PAD src0_sel:WORD_1 src1_sel:DWORD
	v_fma_f16 v24, v5, s24, v23
	v_add_f16_e32 v18, v24, v18
	v_mul_f16_sdwa v24, v8, s19 dst_sel:DWORD dst_unused:UNUSED_PAD src0_sel:WORD_1 src1_sel:DWORD
	v_pk_add_f16 v4, v4, v25
	v_fma_f16 v25, v6, s20, v24
	v_mul_f16_sdwa v26, v12, s11 dst_sel:DWORD dst_unused:UNUSED_PAD src0_sel:WORD_1 src1_sel:DWORD
	v_pk_add_f16 v4, v4, v36
	v_add_f16_e32 v25, v3, v25
	v_fma_f16 v36, v10, s15, v26
	v_add_f16_e32 v25, v36, v25
	v_mul_f16_sdwa v36, v13, s17 dst_sel:DWORD dst_unused:UNUSED_PAD src0_sel:WORD_1 src1_sel:DWORD
	v_fma_f16 v37, v14, s14, v36
	v_add_f16_e32 v25, v37, v25
	v_mul_f16_sdwa v37, v11, s28 dst_sel:DWORD dst_unused:UNUSED_PAD src0_sel:WORD_1 src1_sel:DWORD
	;; [unrolled: 3-line block ×5, first 2 shown]
	v_fma_f16 v41, v8, s24, v40
	v_mul_f16_sdwa v42, v10, s20 dst_sel:DWORD dst_unused:UNUSED_PAD src0_sel:WORD_1 src1_sel:DWORD
	v_add_f16_sdwa v41, v3, v41 dst_sel:DWORD dst_unused:UNUSED_PAD src0_sel:WORD_1 src1_sel:DWORD
	v_fma_f16 v43, v12, s19, v42
	v_add_f16_e32 v41, v43, v41
	v_mul_f16_sdwa v43, v14, s10 dst_sel:DWORD dst_unused:UNUSED_PAD src0_sel:WORD_1 src1_sel:DWORD
	v_fma_f16 v44, v13, s26, v43
	v_add_f16_e32 v41, v44, v41
	v_mul_f16_sdwa v44, v15, s15 dst_sel:DWORD dst_unused:UNUSED_PAD src0_sel:WORD_1 src1_sel:DWORD
	;; [unrolled: 3-line block ×5, first 2 shown]
	v_fma_f16 v48, v6, s18, v47
	v_mul_f16_sdwa v49, v12, s23 dst_sel:DWORD dst_unused:UNUSED_PAD src0_sel:WORD_1 src1_sel:DWORD
	v_add_f16_e32 v48, v3, v48
	v_fma_f16 v50, v10, s20, v49
	v_add_f16_e32 v48, v50, v48
	v_mul_f16_sdwa v50, v13, s27 dst_sel:DWORD dst_unused:UNUSED_PAD src0_sel:WORD_1 src1_sel:DWORD
	v_fma_f16 v51, v14, s10, v50
	v_add_f16_e32 v48, v51, v48
	v_mul_f16_sdwa v51, v11, s21 dst_sel:DWORD dst_unused:UNUSED_PAD src0_sel:WORD_1 src1_sel:DWORD
	;; [unrolled: 3-line block ×5, first 2 shown]
	v_fma_f16 v55, v8, s11, v54
	v_mul_f16_sdwa v56, v10, s25 dst_sel:DWORD dst_unused:UNUSED_PAD src0_sel:WORD_1 src1_sel:DWORD
	v_add_f16_sdwa v55, v3, v55 dst_sel:DWORD dst_unused:UNUSED_PAD src0_sel:WORD_1 src1_sel:DWORD
	v_fma_f16 v57, v12, s28, v56
	v_add_f16_e32 v55, v57, v55
	v_mul_f16_sdwa v57, v14, s18 dst_sel:DWORD dst_unused:UNUSED_PAD src0_sel:WORD_1 src1_sel:DWORD
	v_fma_f16 v58, v13, s16, v57
	v_add_f16_e32 v55, v58, v55
	v_mul_f16_sdwa v58, v15, s10 dst_sel:DWORD dst_unused:UNUSED_PAD src0_sel:WORD_1 src1_sel:DWORD
	;; [unrolled: 3-line block ×5, first 2 shown]
	v_fma_f16 v62, v6, s15, v61
	v_mul_f16_sdwa v63, v12, s22 dst_sel:DWORD dst_unused:UNUSED_PAD src0_sel:WORD_1 src1_sel:DWORD
	v_add_f16_e32 v62, v3, v62
	v_fma_f16 v64, v10, s25, v63
	v_fma_f16 v9, v8, s19, v9
	v_add_f16_e32 v62, v64, v62
	v_mul_f16_sdwa v64, v13, s24 dst_sel:DWORD dst_unused:UNUSED_PAD src0_sel:WORD_1 src1_sel:DWORD
	v_add_f16_sdwa v9, v3, v9 dst_sel:DWORD dst_unused:UNUSED_PAD src0_sel:WORD_1 src1_sel:DWORD
	v_fma_f16 v19, v12, s11, v19
	v_fma_f16 v65, v14, s18, v64
	v_add_f16_e32 v9, v19, v9
	v_fma_f16 v19, v13, s17, v20
	v_add_f16_e32 v62, v65, v62
	v_mul_f16_sdwa v65, v11, s27 dst_sel:DWORD dst_unused:UNUSED_PAD src0_sel:WORD_1 src1_sel:DWORD
	v_add_f16_e32 v9, v19, v9
	v_fma_f16 v19, v11, s28, v21
	v_fma_f16 v66, v15, s10, v65
	v_add_f16_e32 v9, v19, v9
	v_fma_f16 v19, v7, s27, v22
	v_add_f16_e32 v62, v66, v62
	v_mul_f16_sdwa v66, v7, s17 dst_sel:DWORD dst_unused:UNUSED_PAD src0_sel:WORD_1 src1_sel:DWORD
	v_add_f16_e32 v9, v19, v9
	v_fma_f16 v19, v5, s16, v23
	v_fma_f16 v67, v16, s14, v66
	v_add_f16_e32 v9, v19, v9
	v_fma_f16 v19, v6, s20, -v24
	v_add_f16_e32 v62, v67, v62
	v_mul_f16_sdwa v67, v5, s19 dst_sel:DWORD dst_unused:UNUSED_PAD src0_sel:WORD_1 src1_sel:DWORD
	v_add_f16_e32 v19, v3, v19
	v_fma_f16 v20, v10, s15, -v26
	v_fma_f16 v68, v17, s20, v67
	v_add_f16_e32 v19, v20, v19
	v_fma_f16 v20, v14, s14, -v36
	v_add_f16_e32 v62, v68, v62
	v_mul_f16_sdwa v68, v6, s14 dst_sel:DWORD dst_unused:UNUSED_PAD src0_sel:WORD_1 src1_sel:DWORD
	v_add_f16_e32 v19, v20, v19
	v_fma_f16 v20, v15, s25, -v37
	v_fma_f16 v69, v8, s7, v68
	v_mul_f16_sdwa v70, v10, s18 dst_sel:DWORD dst_unused:UNUSED_PAD src0_sel:WORD_1 src1_sel:DWORD
	v_add_f16_e32 v19, v20, v19
	v_fma_f16 v20, v16, s10, -v38
	v_add_f16_sdwa v69, v3, v69 dst_sel:DWORD dst_unused:UNUSED_PAD src0_sel:WORD_1 src1_sel:DWORD
	v_fma_f16 v71, v12, s24, v70
	v_add_f16_e32 v19, v20, v19
	v_fma_f16 v20, v17, s18, -v39
	v_add_f16_e32 v69, v71, v69
	v_mul_f16_sdwa v71, v14, s25 dst_sel:DWORD dst_unused:UNUSED_PAD src0_sel:WORD_1 src1_sel:DWORD
	v_add_f16_e32 v19, v20, v19
	v_fma_f16 v20, v8, s16, v40
	v_fma_f16 v72, v13, s28, v71
	v_add_f16_sdwa v20, v3, v20 dst_sel:DWORD dst_unused:UNUSED_PAD src0_sel:WORD_1 src1_sel:DWORD
	v_fma_f16 v21, v12, s23, v42
	v_add_f16_e32 v69, v72, v69
	v_mul_f16_sdwa v72, v15, s20 dst_sel:DWORD dst_unused:UNUSED_PAD src0_sel:WORD_1 src1_sel:DWORD
	v_add_f16_e32 v20, v21, v20
	v_fma_f16 v21, v13, s27, v43
	v_fma_f16 v73, v11, s19, v72
	v_add_f16_e32 v20, v21, v20
	v_fma_f16 v21, v11, s21, v44
	v_add_f16_e32 v69, v73, v69
	v_mul_f16_sdwa v73, v16, s15 dst_sel:DWORD dst_unused:UNUSED_PAD src0_sel:WORD_1 src1_sel:DWORD
	v_add_f16_e32 v20, v21, v20
	v_fma_f16 v21, v7, s28, v45
	v_fma_f16 v74, v7, s21, v73
	v_add_f16_e32 v20, v21, v20
	v_fma_f16 v22, v5, s7, v46
	v_add_f16_e32 v69, v74, v69
	v_mul_f16_sdwa v74, v17, s10 dst_sel:DWORD dst_unused:UNUSED_PAD src0_sel:WORD_1 src1_sel:DWORD
	v_add_f16_e32 v20, v22, v20
	v_fma_f16 v22, v6, s18, -v47
	v_fma_f16 v75, v5, s26, v74
	v_add_f16_e32 v22, v3, v22
	v_fma_f16 v23, v10, s20, -v49
	v_add_f16_e32 v69, v75, v69
	v_mul_f16_sdwa v75, v8, s17 dst_sel:DWORD dst_unused:UNUSED_PAD src0_sel:WORD_1 src1_sel:DWORD
	v_add_f16_e32 v22, v23, v22
	v_fma_f16 v23, v14, s10, -v50
	v_fma_f16 v76, v6, s14, v75
	v_mul_f16_sdwa v77, v12, s16 dst_sel:DWORD dst_unused:UNUSED_PAD src0_sel:WORD_1 src1_sel:DWORD
	v_add_f16_e32 v22, v23, v22
	v_fma_f16 v23, v15, s15, -v51
	v_add_f16_e32 v76, v3, v76
	v_fma_f16 v78, v10, s18, v77
	v_add_f16_e32 v22, v23, v22
	v_fma_f16 v23, v16, s25, -v52
	v_add_f16_e32 v76, v78, v76
	v_mul_f16_sdwa v78, v13, s22 dst_sel:DWORD dst_unused:UNUSED_PAD src0_sel:WORD_1 src1_sel:DWORD
	v_add_f16_e32 v22, v23, v22
	v_fma_f16 v23, v17, s14, -v53
	v_fma_f16 v79, v14, s25, v78
	v_add_f16_e32 v22, v23, v22
	v_fma_f16 v23, v8, s21, v54
	v_add_f16_e32 v76, v79, v76
	v_mul_f16_sdwa v79, v11, s23 dst_sel:DWORD dst_unused:UNUSED_PAD src0_sel:WORD_1 src1_sel:DWORD
	v_add_f16_sdwa v23, v3, v23 dst_sel:DWORD dst_unused:UNUSED_PAD src0_sel:WORD_1 src1_sel:DWORD
	v_fma_f16 v24, v12, s22, v56
	v_fma_f16 v80, v15, s20, v79
	v_add_f16_e32 v23, v24, v23
	v_fma_f16 v24, v13, s24, v57
	v_add_f16_e32 v76, v80, v76
	v_mul_f16_sdwa v80, v7, s11 dst_sel:DWORD dst_unused:UNUSED_PAD src0_sel:WORD_1 src1_sel:DWORD
	v_add_f16_e32 v23, v24, v23
	v_fma_f16 v24, v11, s27, v58
	v_fma_f16 v81, v16, s15, v80
	v_add_f16_e32 v23, v24, v23
	v_fma_f16 v24, v7, s17, v59
	v_add_f16_e32 v76, v81, v76
	v_mul_f16_sdwa v81, v5, s27 dst_sel:DWORD dst_unused:UNUSED_PAD src0_sel:WORD_1 src1_sel:DWORD
	v_add_f16_e32 v23, v24, v23
	v_fma_f16 v24, v5, s19, v60
	v_fma_f16 v82, v17, s10, v81
	v_add_f16_e32 v23, v24, v23
	v_fma_f16 v24, v6, s15, -v61
	v_add_f16_e32 v76, v82, v76
	v_pk_mul_f16 v82, v8, s26 op_sel_hi:[1,0]
	v_add_f16_e32 v24, v3, v24
	v_fma_f16 v26, v10, s25, -v63
	v_pk_fma_f16 v83, v6, s10, v82 op_sel:[0,0,1] op_sel_hi:[1,0,0]
	v_pk_fma_f16 v82, v6, s10, v82 op_sel:[0,0,1] op_sel_hi:[1,0,0] neg_lo:[0,0,1] neg_hi:[0,0,1]
	v_pk_mul_f16 v85, v12, s17 op_sel_hi:[1,0]
	v_add_f16_e32 v24, v26, v24
	v_fma_f16 v26, v14, s18, -v64
	v_bfi_b32 v84, s6, v83, v82
	v_pk_fma_f16 v86, v10, s14, v85 op_sel:[0,0,1] op_sel_hi:[1,0,0]
	v_pk_fma_f16 v85, v10, s14, v85 op_sel:[0,0,1] op_sel_hi:[1,0,0] neg_lo:[0,0,1] neg_hi:[0,0,1]
	v_add_f16_e32 v24, v26, v24
	v_fma_f16 v26, v15, s10, -v65
	v_pk_add_f16 v84, v3, v84
	v_bfi_b32 v87, s6, v86, v85
	v_add_f16_e32 v24, v26, v24
	v_fma_f16 v26, v16, s14, -v66
	v_pk_add_f16 v84, v87, v84
	v_pk_mul_f16 v87, v13, s21 op_sel_hi:[1,0]
	v_add_f16_e32 v24, v26, v24
	v_fma_f16 v26, v17, s20, -v67
	v_pk_fma_f16 v88, v14, s15, v87 op_sel:[0,0,1] op_sel_hi:[1,0,0]
	v_pk_fma_f16 v87, v14, s15, v87 op_sel:[0,0,1] op_sel_hi:[1,0,0] neg_lo:[0,0,1] neg_hi:[0,0,1]
	v_add_f16_e32 v24, v26, v24
	v_fma_f16 v26, v8, s17, v68
	v_bfi_b32 v89, s6, v88, v87
	v_add_f16_sdwa v26, v3, v26 dst_sel:DWORD dst_unused:UNUSED_PAD src0_sel:WORD_1 src1_sel:DWORD
	v_fma_f16 v36, v12, s16, v70
	v_pk_add_f16 v84, v89, v84
	v_pk_mul_f16 v89, v11, s16 op_sel_hi:[1,0]
	v_add_f16_e32 v26, v36, v26
	v_fma_f16 v36, v13, s22, v71
	v_pk_fma_f16 v90, v15, s18, v89 op_sel:[0,0,1] op_sel_hi:[1,0,0]
	v_pk_fma_f16 v89, v15, s18, v89 op_sel:[0,0,1] op_sel_hi:[1,0,0] neg_lo:[0,0,1] neg_hi:[0,0,1]
	v_add_f16_e32 v26, v36, v26
	v_fma_f16 v36, v11, s23, v72
	v_bfi_b32 v91, s6, v90, v89
	v_add_f16_e32 v26, v36, v26
	v_fma_f16 v36, v7, s11, v73
	v_pk_add_f16 v84, v91, v84
	v_pk_mul_f16 v91, v7, s19 op_sel_hi:[1,0]
	v_add_f16_e32 v26, v36, v26
	v_fma_f16 v36, v5, s27, v74
	v_pk_fma_f16 v92, v16, s20, v91 op_sel:[0,0,1] op_sel_hi:[1,0,0]
	v_pk_fma_f16 v91, v16, s20, v91 op_sel:[0,0,1] op_sel_hi:[1,0,0] neg_lo:[0,0,1] neg_hi:[0,0,1]
	v_add_f16_e32 v26, v36, v26
	v_fma_f16 v36, v6, s14, -v75
	v_bfi_b32 v93, s6, v92, v91
	v_add_f16_e32 v36, v3, v36
	v_fma_f16 v37, v10, s18, -v77
	v_pk_add_f16 v84, v93, v84
	v_pk_mul_f16 v93, v5, s22 op_sel_hi:[1,0]
	v_add_f16_e32 v36, v37, v36
	v_fma_f16 v37, v14, s25, -v78
	v_pk_fma_f16 v94, v17, s25, v93 op_sel:[0,0,1] op_sel_hi:[1,0,0]
	v_pk_fma_f16 v93, v17, s25, v93 op_sel:[0,0,1] op_sel_hi:[1,0,0] neg_lo:[0,0,1] neg_hi:[0,0,1]
	v_add_f16_e32 v36, v37, v36
	v_fma_f16 v37, v15, s20, -v79
	v_bfi_b32 v95, s6, v94, v93
	v_mul_i32_i24_e32 v21, 52, v35
	v_add_f16_e32 v36, v37, v36
	v_fma_f16 v37, v16, s15, -v80
	v_pk_add_f16 v84, v95, v84
	v_add3_u32 v21, 0, v21, v33
	v_add_f16_e32 v36, v37, v36
	v_fma_f16 v37, v17, s10, -v81
	v_add_f16_e32 v36, v37, v36
	ds_write2_b32 v21, v4, v84 offset1:1
	v_pack_b32_f16 v4, v62, v55
	v_pack_b32_f16 v37, v76, v69
	ds_write2_b32 v21, v37, v4 offset0:2 offset1:3
	v_pack_b32_f16 v4, v25, v18
	v_pack_b32_f16 v18, v48, v41
	ds_write2_b32 v21, v18, v4 offset0:4 offset1:5
	v_pk_mul_f16 v4, v6, s25 op_sel_hi:[1,0]
	v_pk_fma_f16 v6, v8, s22, v4 op_sel:[0,0,1] op_sel_hi:[1,0,0]
	v_pk_mul_f16 v10, v10, s10 op_sel_hi:[1,0]
	v_alignbit_b32 v18, s0, v6, 16
	v_pk_fma_f16 v25, v12, s27, v10 op_sel:[0,0,1] op_sel_hi:[1,0,0]
	v_pk_add_f16 v18, v3, v18
	v_alignbit_b32 v37, s0, v25, 16
	v_pk_mul_f16 v14, v14, s20 op_sel_hi:[1,0]
	v_pk_add_f16 v18, v37, v18
	v_pk_fma_f16 v37, v13, s19, v14 op_sel:[0,0,1] op_sel_hi:[1,0,0]
	v_alignbit_b32 v38, s0, v37, 16
	v_pk_mul_f16 v15, v15, s14 op_sel_hi:[1,0]
	v_pk_add_f16 v18, v38, v18
	v_pk_fma_f16 v38, v11, s7, v15 op_sel:[0,0,1] op_sel_hi:[1,0,0]
	;; [unrolled: 4-line block ×4, first 2 shown]
	v_alignbit_b32 v41, s0, v40, 16
	v_pk_add_f16 v18, v41, v18
	v_alignbit_b32 v41, s0, v3, 16
	v_pk_fma_f16 v4, v8, s22, v4 op_sel:[0,0,1] op_sel_hi:[1,0,0] neg_lo:[1,0,0] neg_hi:[1,0,0]
	v_pk_add_f16 v6, v41, v6
	v_pk_add_f16 v4, v3, v4 op_sel:[1,0] op_sel_hi:[0,1]
	v_pk_fma_f16 v8, v12, s27, v10 op_sel:[0,0,1] op_sel_hi:[1,0,0] neg_lo:[1,0,0] neg_hi:[1,0,0]
	v_pk_add_f16 v6, v25, v6
	v_pk_add_f16 v4, v8, v4
	v_pk_fma_f16 v8, v13, s19, v14 op_sel:[0,0,1] op_sel_hi:[1,0,0] neg_lo:[1,0,0] neg_hi:[1,0,0]
	v_pk_add_f16 v6, v37, v6
	v_pk_add_f16 v4, v8, v4
	;; [unrolled: 3-line block ×5, first 2 shown]
	v_alignbit_b32 v5, v6, v4, 16
	v_pack_b32_f16 v4, v18, v4
	ds_write2_b32 v21, v4, v5 offset0:6 offset1:7
	v_pack_b32_f16 v4, v22, v20
	v_pack_b32_f16 v5, v19, v9
	ds_write2_b32 v21, v5, v4 offset0:8 offset1:9
	v_pack_b32_f16 v4, v36, v26
	v_pack_b32_f16 v5, v24, v23
	ds_write2_b32 v21, v5, v4 offset0:10 offset1:11
	v_bfi_b32 v4, s6, v82, v83
	v_pk_add_f16 v3, v3, v4
	v_bfi_b32 v4, s6, v85, v86
	v_pk_add_f16 v3, v4, v3
	;; [unrolled: 2-line block ×6, first 2 shown]
	ds_write_b32 v21, v3 offset:48
.LBB0_15:
	s_or_b64 exec, exec, s[4:5]
	v_mov_b32_e32 v3, 0
	v_lshlrev_b64 v[4:5], 2, v[2:3]
	v_mov_b32_e32 v25, s9
	v_add_co_u32_e64 v4, s[0:1], s8, v4
	v_addc_co_u32_e64 v5, s[0:1], v25, v5, s[0:1]
	s_movk_i32 s0, 0x4f
	s_waitcnt lgkmcnt(0)
	; wave barrier
	s_waitcnt lgkmcnt(0)
	global_load_dwordx4 v[5:8], v[4:5], off
	v_mul_lo_u16_sdwa v4, v31, s0 dst_sel:DWORD dst_unused:UNUSED_PAD src0_sel:BYTE_0 src1_sel:DWORD
	v_lshrrev_b16_e32 v4, 10, v4
	v_mul_lo_u16_e32 v4, 13, v4
	v_mov_b32_e32 v2, 4
	v_sub_u16_e32 v26, v31, v4
	v_lshlrev_b32_sdwa v2, v2, v26 dst_sel:DWORD dst_unused:UNUSED_PAD src0_sel:DWORD src1_sel:BYTE_0
	global_load_dwordx4 v[9:12], v2, s[8:9]
	ds_read_b32 v2, v32
	ds_read2_b32 v[13:14], v34 offset0:26 offset1:39
	ds_read2_b32 v[15:16], v34 offset0:78 offset1:91
	;; [unrolled: 1-line block ×6, first 2 shown]
	v_lshlrev_b32_e32 v4, 2, v35
	v_add3_u32 v4, 0, v4, v33
	ds_read_b32 v37, v4
	ds_read_b32 v38, v34 offset:728
	s_waitcnt lgkmcnt(3)
	v_lshrrev_b32_e32 v41, 16, v21
	v_lshrrev_b32_e32 v42, 16, v16
	;; [unrolled: 1-line block ×5, first 2 shown]
	s_waitcnt lgkmcnt(2)
	v_lshrrev_b32_e32 v43, 16, v23
	v_lshrrev_b32_e32 v46, 16, v22
	;; [unrolled: 1-line block ×6, first 2 shown]
	s_mov_b32 s0, 0xbb9c
	s_movk_i32 s5, 0x3b9c
	s_waitcnt lgkmcnt(0)
	v_lshrrev_b32_e32 v52, 16, v38
	s_mov_b32 s1, 0xb8b4
	s_movk_i32 s6, 0x38b4
	s_movk_i32 s4, 0x34f2
	v_lshrrev_b32_e32 v39, 16, v2
	v_mov_b32_e32 v36, 2
	v_lshlrev_b32_sdwa v26, v36, v26 dst_sel:DWORD dst_unused:UNUSED_PAD src0_sel:DWORD src1_sel:BYTE_0
	v_lshrrev_b32_e32 v36, 16, v37
	v_lshrrev_b32_e32 v45, 16, v13
	s_waitcnt lgkmcnt(0)
	; wave barrier
	s_waitcnt vmcnt(1)
	v_mul_f16_sdwa v53, v5, v49 dst_sel:DWORD dst_unused:UNUSED_PAD src0_sel:WORD_1 src1_sel:DWORD
	v_mul_f16_sdwa v54, v5, v14 dst_sel:DWORD dst_unused:UNUSED_PAD src0_sel:WORD_1 src1_sel:DWORD
	;; [unrolled: 1-line block ×5, first 2 shown]
	v_mul_f16_sdwa v61, v41, v5 dst_sel:DWORD dst_unused:UNUSED_PAD src0_sel:DWORD src1_sel:WORD_1
	v_mul_f16_sdwa v62, v21, v5 dst_sel:DWORD dst_unused:UNUSED_PAD src0_sel:DWORD src1_sel:WORD_1
	;; [unrolled: 1-line block ×4, first 2 shown]
	v_mul_f16_sdwa v58, v7, v18 dst_sel:DWORD dst_unused:UNUSED_PAD src0_sel:WORD_1 src1_sel:DWORD
	v_mul_f16_sdwa v60, v19, v8 dst_sel:DWORD dst_unused:UNUSED_PAD src0_sel:DWORD src1_sel:WORD_1
	v_mul_f16_sdwa v65, v43, v7 dst_sel:DWORD dst_unused:UNUSED_PAD src0_sel:DWORD src1_sel:WORD_1
	;; [unrolled: 1-line block ×3, first 2 shown]
	v_fma_f16 v14, v5, v14, v53
	v_fma_f16 v49, v5, v49, -v54
	v_fma_f16 v15, v6, v15, v55
	v_fma_f16 v50, v6, v50, -v56
	v_fma_f16 v18, v7, v18, v57
	v_fma_f16 v21, v21, v5, v61
	v_fma_f16 v5, v41, v5, -v62
	v_fma_f16 v16, v16, v6, v63
	v_fma_f16 v6, v42, v6, -v64
	s_waitcnt vmcnt(0)
	v_mul_f16_sdwa v41, v46, v9 dst_sel:DWORD dst_unused:UNUSED_PAD src0_sel:DWORD src1_sel:WORD_1
	v_mul_f16_sdwa v42, v22, v9 dst_sel:DWORD dst_unused:UNUSED_PAD src0_sel:DWORD src1_sel:WORD_1
	v_mul_f16_sdwa v59, v40, v8 dst_sel:DWORD dst_unused:UNUSED_PAD src0_sel:DWORD src1_sel:WORD_1
	v_mul_f16_sdwa v67, v44, v8 dst_sel:DWORD dst_unused:UNUSED_PAD src0_sel:DWORD src1_sel:WORD_1
	v_mul_f16_sdwa v68, v20, v8 dst_sel:DWORD dst_unused:UNUSED_PAD src0_sel:DWORD src1_sel:WORD_1
	v_fma_f16 v51, v7, v51, -v58
	v_fma_f16 v40, v40, v8, -v60
	v_fma_f16 v23, v23, v7, v65
	v_fma_f16 v7, v43, v7, -v66
	v_mul_f16_sdwa v43, v47, v10 dst_sel:DWORD dst_unused:UNUSED_PAD src0_sel:DWORD src1_sel:WORD_1
	v_mul_f16_sdwa v53, v48, v11 dst_sel:DWORD dst_unused:UNUSED_PAD src0_sel:DWORD src1_sel:WORD_1
	v_fma_f16 v22, v22, v9, v41
	v_fma_f16 v9, v46, v9, -v42
	v_add_f16_e32 v42, v15, v18
	v_fma_f16 v19, v19, v8, v59
	v_fma_f16 v20, v20, v8, v67
	v_fma_f16 v8, v44, v8, -v68
	v_mul_f16_sdwa v44, v17, v10 dst_sel:DWORD dst_unused:UNUSED_PAD src0_sel:DWORD src1_sel:WORD_1
	v_fma_f16 v17, v17, v10, v43
	v_fma_f16 v41, v24, v11, v53
	v_mul_f16_sdwa v24, v24, v11 dst_sel:DWORD dst_unused:UNUSED_PAD src0_sel:DWORD src1_sel:WORD_1
	v_fma_f16 v42, v42, -0.5, v2
	v_sub_f16_e32 v43, v49, v40
	v_fma_f16 v10, v47, v10, -v44
	v_fma_f16 v11, v48, v11, -v24
	v_fma_f16 v44, v43, s0, v42
	v_sub_f16_e32 v46, v50, v51
	v_sub_f16_e32 v47, v14, v15
	;; [unrolled: 1-line block ×3, first 2 shown]
	v_fma_f16 v42, v43, s5, v42
	v_mul_f16_sdwa v24, v52, v12 dst_sel:DWORD dst_unused:UNUSED_PAD src0_sel:DWORD src1_sel:WORD_1
	v_fma_f16 v44, v46, s1, v44
	v_add_f16_e32 v47, v47, v48
	v_fma_f16 v42, v46, s6, v42
	v_fma_f16 v24, v38, v12, v24
	v_mul_f16_sdwa v38, v38, v12 dst_sel:DWORD dst_unused:UNUSED_PAD src0_sel:DWORD src1_sel:WORD_1
	v_fma_f16 v44, v47, s4, v44
	v_fma_f16 v42, v47, s4, v42
	v_add_f16_e32 v47, v14, v19
	v_fma_f16 v12, v52, v12, -v38
	v_add_f16_e32 v38, v2, v14
	v_fma_f16 v2, v47, -0.5, v2
	v_add_f16_e32 v38, v38, v15
	v_fma_f16 v47, v46, s5, v2
	v_fma_f16 v2, v46, s0, v2
	v_add_f16_e32 v46, v50, v51
	v_add_f16_e32 v38, v38, v18
	v_sub_f16_e32 v48, v15, v14
	v_sub_f16_e32 v52, v18, v19
	v_fma_f16 v46, v46, -0.5, v39
	v_sub_f16_e32 v14, v14, v19
	v_add_f16_e32 v38, v38, v19
	v_fma_f16 v47, v43, s1, v47
	v_add_f16_e32 v48, v48, v52
	v_fma_f16 v2, v43, s6, v2
	v_fma_f16 v19, v14, s5, v46
	v_sub_f16_e32 v15, v15, v18
	v_fma_f16 v47, v48, s4, v47
	v_fma_f16 v2, v48, s4, v2
	;; [unrolled: 1-line block ×3, first 2 shown]
	v_sub_f16_e32 v19, v49, v50
	v_sub_f16_e32 v48, v40, v51
	v_fma_f16 v46, v14, s0, v46
	v_add_f16_e32 v43, v39, v49
	v_add_f16_e32 v19, v19, v48
	v_fma_f16 v46, v15, s1, v46
	v_add_f16_e32 v43, v43, v50
	v_fma_f16 v18, v19, s4, v18
	v_fma_f16 v19, v19, s4, v46
	v_add_f16_e32 v46, v49, v40
	v_add_f16_e32 v43, v43, v51
	v_fma_f16 v39, v46, -0.5, v39
	v_add_f16_e32 v43, v43, v40
	v_fma_f16 v46, v15, s0, v39
	v_sub_f16_e32 v48, v50, v49
	v_sub_f16_e32 v40, v51, v40
	v_fma_f16 v15, v15, s5, v39
	v_fma_f16 v46, v14, s6, v46
	v_add_f16_e32 v40, v48, v40
	v_fma_f16 v14, v14, s1, v15
	v_add_f16_e32 v39, v16, v23
	v_fma_f16 v46, v40, s4, v46
	v_fma_f16 v14, v40, s4, v14
	v_fma_f16 v39, v39, -0.5, v37
	v_sub_f16_e32 v40, v5, v8
	v_fma_f16 v48, v40, s0, v39
	v_sub_f16_e32 v49, v6, v7
	v_sub_f16_e32 v50, v21, v16
	;; [unrolled: 1-line block ×3, first 2 shown]
	v_fma_f16 v39, v40, s5, v39
	v_fma_f16 v48, v49, s1, v48
	v_add_f16_e32 v50, v50, v51
	v_fma_f16 v39, v49, s6, v39
	v_add_f16_e32 v15, v37, v21
	v_fma_f16 v48, v50, s4, v48
	v_fma_f16 v39, v50, s4, v39
	v_add_f16_e32 v50, v21, v20
	v_add_f16_e32 v15, v15, v16
	v_fma_f16 v37, v50, -0.5, v37
	v_add_f16_e32 v15, v15, v23
	v_fma_f16 v50, v49, s5, v37
	v_sub_f16_e32 v51, v16, v21
	v_sub_f16_e32 v52, v23, v20
	v_fma_f16 v37, v49, s0, v37
	v_add_f16_e32 v49, v6, v7
	v_add_f16_e32 v15, v15, v20
	v_fma_f16 v50, v40, s1, v50
	v_add_f16_e32 v51, v51, v52
	v_fma_f16 v37, v40, s6, v37
	v_fma_f16 v49, v49, -0.5, v36
	v_sub_f16_e32 v20, v21, v20
	v_fma_f16 v50, v51, s4, v50
	v_fma_f16 v37, v51, s4, v37
	;; [unrolled: 1-line block ×3, first 2 shown]
	v_sub_f16_e32 v16, v16, v23
	v_sub_f16_e32 v23, v5, v6
	;; [unrolled: 1-line block ×3, first 2 shown]
	v_fma_f16 v49, v20, s0, v49
	v_add_f16_e32 v40, v36, v5
	v_fma_f16 v21, v16, s6, v21
	v_add_f16_e32 v23, v23, v51
	;; [unrolled: 2-line block ×3, first 2 shown]
	v_fma_f16 v21, v23, s4, v21
	v_fma_f16 v23, v23, s4, v49
	v_add_f16_e32 v49, v5, v8
	v_add_f16_e32 v40, v40, v7
	v_fma_f16 v36, v49, -0.5, v36
	v_add_f16_e32 v40, v40, v8
	v_fma_f16 v49, v16, s0, v36
	v_sub_f16_e32 v5, v6, v5
	v_sub_f16_e32 v6, v7, v8
	v_add_f16_e32 v8, v17, v41
	v_fma_f16 v49, v20, s6, v49
	v_add_f16_e32 v5, v5, v6
	v_fma_f16 v7, v16, s5, v36
	v_fma_f16 v8, v8, -0.5, v13
	v_sub_f16_e32 v16, v9, v12
	v_fma_f16 v6, v5, s4, v49
	v_fma_f16 v7, v20, s1, v7
	;; [unrolled: 1-line block ×3, first 2 shown]
	v_sub_f16_e32 v36, v10, v11
	v_sub_f16_e32 v49, v22, v17
	;; [unrolled: 1-line block ×3, first 2 shown]
	v_fma_f16 v8, v16, s5, v8
	v_fma_f16 v20, v36, s1, v20
	v_add_f16_e32 v49, v49, v51
	v_fma_f16 v8, v36, s6, v8
	v_fma_f16 v20, v49, s4, v20
	v_fma_f16 v8, v49, s4, v8
	v_add_f16_e32 v49, v22, v24
	v_fma_f16 v5, v5, s4, v7
	v_add_f16_e32 v7, v13, v22
	v_fma_f16 v13, v49, -0.5, v13
	v_add_f16_e32 v7, v7, v17
	v_fma_f16 v49, v36, s5, v13
	v_sub_f16_e32 v51, v17, v22
	v_sub_f16_e32 v52, v41, v24
	v_fma_f16 v13, v36, s0, v13
	v_add_f16_e32 v36, v10, v11
	v_add_f16_e32 v7, v7, v41
	v_fma_f16 v49, v16, s1, v49
	v_add_f16_e32 v51, v51, v52
	v_fma_f16 v13, v16, s6, v13
	v_fma_f16 v36, v36, -0.5, v45
	v_sub_f16_e32 v22, v22, v24
	v_add_f16_e32 v7, v7, v24
	v_fma_f16 v49, v51, s4, v49
	v_fma_f16 v13, v51, s4, v13
	;; [unrolled: 1-line block ×3, first 2 shown]
	v_sub_f16_e32 v17, v17, v41
	v_sub_f16_e32 v41, v9, v10
	;; [unrolled: 1-line block ×3, first 2 shown]
	v_fma_f16 v36, v22, s0, v36
	v_fma_f16 v24, v17, s6, v24
	v_add_f16_e32 v41, v41, v51
	v_fma_f16 v36, v17, s1, v36
	v_add_f16_e32 v16, v45, v9
	v_fma_f16 v24, v41, s4, v24
	v_fma_f16 v36, v41, s4, v36
	v_add_f16_e32 v41, v9, v12
	v_add_f16_e32 v16, v16, v10
	v_fma_f16 v41, v41, -0.5, v45
	v_add_f16_e32 v16, v16, v11
	v_fma_f16 v45, v17, s0, v41
	v_sub_f16_e32 v9, v10, v9
	v_sub_f16_e32 v10, v11, v12
	v_fma_f16 v11, v17, s5, v41
	v_fma_f16 v45, v22, s6, v45
	v_add_f16_e32 v9, v9, v10
	v_fma_f16 v11, v22, s1, v11
	v_add_f16_e32 v16, v16, v12
	v_fma_f16 v10, v9, s4, v45
	v_fma_f16 v9, v9, s4, v11
	v_pack_b32_f16 v11, v38, v43
	v_pack_b32_f16 v12, v44, v18
	ds_write2_b32 v34, v11, v12 offset1:13
	v_pack_b32_f16 v11, v47, v46
	v_pack_b32_f16 v2, v2, v14
	ds_write2_b32 v34, v11, v2 offset0:26 offset1:39
	v_pack_b32_f16 v2, v42, v19
	v_pack_b32_f16 v11, v15, v40
	ds_write2_b32 v34, v2, v11 offset0:52 offset1:65
	;; [unrolled: 3-line block ×4, first 2 shown]
	v_add3_u32 v2, 0, v26, v33
	v_pack_b32_f16 v5, v7, v16
	v_pack_b32_f16 v6, v20, v24
	ds_write2_b32 v2, v5, v6 offset0:130 offset1:143
	v_pack_b32_f16 v5, v49, v10
	v_pack_b32_f16 v6, v13, v9
	ds_write2_b32 v2, v5, v6 offset0:156 offset1:169
	v_pack_b32_f16 v5, v8, v36
	ds_write_b32 v2, v5 offset:728
	v_lshlrev_b32_e32 v2, 1, v27
	v_lshlrev_b64 v[5:6], 2, v[2:3]
	s_waitcnt lgkmcnt(0)
	v_add_co_u32_e64 v5, s[0:1], s8, v5
	v_addc_co_u32_e64 v6, s[0:1], v25, v6, s[0:1]
	; wave barrier
	global_load_dwordx2 v[5:6], v[5:6], off offset:208
	v_lshlrev_b32_e32 v2, 1, v35
	v_lshlrev_b64 v[7:8], 2, v[2:3]
	v_lshlrev_b32_e32 v2, 1, v31
	v_add_co_u32_e64 v7, s[0:1], s8, v7
	v_addc_co_u32_e64 v8, s[0:1], v25, v8, s[0:1]
	global_load_dwordx2 v[7:8], v[7:8], off offset:208
	v_lshlrev_b64 v[9:10], 2, v[2:3]
	v_lshlrev_b32_e32 v2, 1, v29
	v_add_co_u32_e64 v9, s[0:1], s8, v9
	v_addc_co_u32_e64 v10, s[0:1], v25, v10, s[0:1]
	global_load_dwordx2 v[9:10], v[9:10], off offset:208
	;; [unrolled: 5-line block ×3, first 2 shown]
	v_lshlrev_b64 v[2:3], 2, v[2:3]
	v_add_co_u32_e64 v2, s[0:1], s8, v2
	v_addc_co_u32_e64 v3, s[0:1], v25, v3, s[0:1]
	global_load_dwordx2 v[2:3], v[2:3], off offset:208
	ds_read_b32 v25, v32
	ds_read_u16 v26, v34 offset:366
	ds_read_b32 v33, v4
	ds_read_b32 v35, v34 offset:728
	ds_read2_b32 v[13:14], v34 offset0:52 offset1:65
	ds_read2_b32 v[15:16], v34 offset0:130 offset1:143
	ds_read2_b32 v[17:18], v34 offset0:26 offset1:39
	ds_read2_b32 v[19:20], v34 offset0:156 offset1:169
	ds_read2_b32 v[21:22], v34 offset0:104 offset1:117
	ds_read2_b32 v[23:24], v34 offset0:78 offset1:91
	s_waitcnt lgkmcnt(5)
	v_lshrrev_b32_e32 v46, 16, v14
	v_lshrrev_b32_e32 v36, 16, v25
	;; [unrolled: 1-line block ×3, first 2 shown]
	s_waitcnt lgkmcnt(2)
	v_lshrrev_b32_e32 v39, 16, v19
	s_waitcnt lgkmcnt(1)
	v_lshrrev_b32_e32 v41, 16, v21
	v_lshrrev_b32_e32 v42, 16, v20
	;; [unrolled: 1-line block ×3, first 2 shown]
	s_mov_b32 s0, 0xbaee
	s_movk_i32 s1, 0x3aee
	v_lshrrev_b32_e32 v37, 16, v33
	v_lshrrev_b32_e32 v38, 16, v17
	;; [unrolled: 1-line block ×4, first 2 shown]
	s_waitcnt lgkmcnt(0)
	; wave barrier
	s_waitcnt vmcnt(4) lgkmcnt(0)
	v_mul_f16_sdwa v47, v5, v46 dst_sel:DWORD dst_unused:UNUSED_PAD src0_sel:WORD_1 src1_sel:DWORD
	v_fma_f16 v47, v5, v14, v47
	v_mul_f16_sdwa v14, v5, v14 dst_sel:DWORD dst_unused:UNUSED_PAD src0_sel:WORD_1 src1_sel:DWORD
	v_fma_f16 v5, v5, v46, -v14
	v_lshrrev_b32_e32 v14, 16, v15
	v_mul_f16_sdwa v46, v6, v14 dst_sel:DWORD dst_unused:UNUSED_PAD src0_sel:WORD_1 src1_sel:DWORD
	v_fma_f16 v46, v6, v15, v46
	v_mul_f16_sdwa v15, v6, v15 dst_sel:DWORD dst_unused:UNUSED_PAD src0_sel:WORD_1 src1_sel:DWORD
	v_fma_f16 v6, v6, v14, -v15
	v_lshrrev_b32_e32 v14, 16, v23
	s_waitcnt vmcnt(3)
	v_mul_f16_sdwa v15, v7, v14 dst_sel:DWORD dst_unused:UNUSED_PAD src0_sel:WORD_1 src1_sel:DWORD
	v_fma_f16 v15, v7, v23, v15
	v_mul_f16_sdwa v23, v7, v23 dst_sel:DWORD dst_unused:UNUSED_PAD src0_sel:WORD_1 src1_sel:DWORD
	v_fma_f16 v7, v7, v14, -v23
	v_lshrrev_b32_e32 v14, 16, v16
	v_mul_f16_sdwa v23, v8, v14 dst_sel:DWORD dst_unused:UNUSED_PAD src0_sel:WORD_1 src1_sel:DWORD
	v_fma_f16 v23, v8, v16, v23
	v_mul_f16_sdwa v16, v8, v16 dst_sel:DWORD dst_unused:UNUSED_PAD src0_sel:WORD_1 src1_sel:DWORD
	v_fma_f16 v8, v8, v14, -v16
	s_waitcnt vmcnt(2)
	v_mul_f16_sdwa v14, v26, v9 dst_sel:DWORD dst_unused:UNUSED_PAD src0_sel:DWORD src1_sel:WORD_1
	v_mul_f16_sdwa v16, v9, v24 dst_sel:DWORD dst_unused:UNUSED_PAD src0_sel:WORD_1 src1_sel:DWORD
	v_fma_f16 v14, v9, v24, v14
	v_fma_f16 v9, v26, v9, -v16
	v_mul_f16_sdwa v16, v39, v10 dst_sel:DWORD dst_unused:UNUSED_PAD src0_sel:DWORD src1_sel:WORD_1
	v_fma_f16 v16, v19, v10, v16
	v_mul_f16_sdwa v19, v19, v10 dst_sel:DWORD dst_unused:UNUSED_PAD src0_sel:DWORD src1_sel:WORD_1
	v_fma_f16 v10, v39, v10, -v19
	s_waitcnt vmcnt(1)
	v_mul_f16_sdwa v19, v41, v11 dst_sel:DWORD dst_unused:UNUSED_PAD src0_sel:DWORD src1_sel:WORD_1
	v_fma_f16 v19, v21, v11, v19
	v_mul_f16_sdwa v21, v21, v11 dst_sel:DWORD dst_unused:UNUSED_PAD src0_sel:DWORD src1_sel:WORD_1
	v_fma_f16 v11, v41, v11, -v21
	v_mul_f16_sdwa v21, v42, v12 dst_sel:DWORD dst_unused:UNUSED_PAD src0_sel:DWORD src1_sel:WORD_1
	v_fma_f16 v21, v20, v12, v21
	v_mul_f16_sdwa v20, v20, v12 dst_sel:DWORD dst_unused:UNUSED_PAD src0_sel:DWORD src1_sel:WORD_1
	v_fma_f16 v12, v42, v12, -v20
	s_waitcnt vmcnt(0)
	v_mul_f16_sdwa v20, v44, v2 dst_sel:DWORD dst_unused:UNUSED_PAD src0_sel:DWORD src1_sel:WORD_1
	v_fma_f16 v20, v22, v2, v20
	v_mul_f16_sdwa v22, v22, v2 dst_sel:DWORD dst_unused:UNUSED_PAD src0_sel:DWORD src1_sel:WORD_1
	v_fma_f16 v2, v44, v2, -v22
	v_mul_f16_sdwa v22, v45, v3 dst_sel:DWORD dst_unused:UNUSED_PAD src0_sel:DWORD src1_sel:WORD_1
	v_mul_f16_sdwa v24, v35, v3 dst_sel:DWORD dst_unused:UNUSED_PAD src0_sel:DWORD src1_sel:WORD_1
	v_add_f16_e32 v26, v47, v46
	v_fma_f16 v22, v35, v3, v22
	v_fma_f16 v3, v45, v3, -v24
	v_add_f16_e32 v24, v25, v47
	v_fma_f16 v25, v26, -0.5, v25
	v_sub_f16_e32 v26, v5, v6
	v_fma_f16 v35, v26, s0, v25
	v_fma_f16 v25, v26, s1, v25
	v_add_f16_e32 v26, v36, v5
	v_add_f16_e32 v5, v5, v6
	v_add_f16_e32 v26, v26, v6
	v_fma_f16 v5, v5, -0.5, v36
	v_sub_f16_e32 v6, v47, v46
	v_add_f16_e32 v39, v15, v23
	v_fma_f16 v36, v6, s1, v5
	v_fma_f16 v5, v6, s0, v5
	v_add_f16_e32 v6, v33, v15
	v_fma_f16 v33, v39, -0.5, v33
	v_sub_f16_e32 v39, v7, v8
	v_fma_f16 v41, v39, s0, v33
	v_fma_f16 v33, v39, s1, v33
	v_add_f16_e32 v39, v37, v7
	v_add_f16_e32 v7, v7, v8
	v_add_f16_e32 v6, v6, v23
	v_add_f16_e32 v39, v39, v8
	v_fma_f16 v7, v7, -0.5, v37
	v_sub_f16_e32 v8, v15, v23
	v_add_f16_e32 v23, v14, v16
	v_fma_f16 v15, v8, s1, v7
	v_fma_f16 v7, v8, s0, v7
	v_add_f16_e32 v8, v17, v14
	v_fma_f16 v17, v23, -0.5, v17
	v_sub_f16_e32 v23, v9, v10
	v_fma_f16 v37, v23, s0, v17
	v_fma_f16 v17, v23, s1, v17
	v_add_f16_e32 v23, v38, v9
	;; [unrolled: 14-line block ×4, first 2 shown]
	v_add_f16_e32 v2, v2, v3
	v_add_f16_e32 v24, v24, v46
	;; [unrolled: 1-line block ×3, first 2 shown]
	v_fma_f16 v2, v2, -0.5, v43
	v_sub_f16_e32 v3, v20, v22
	v_fma_f16 v20, v3, s1, v2
	v_fma_f16 v2, v3, s0, v2
	v_pack_b32_f16 v3, v24, v26
	ds_write_b32 v34, v3
	v_pack_b32_f16 v3, v35, v36
	ds_write_b32 v34, v3 offset:260
	v_pack_b32_f16 v3, v25, v5
	ds_write_b32 v34, v3 offset:520
	v_pack_b32_f16 v3, v6, v39
	v_pack_b32_f16 v5, v41, v15
	ds_write2_b32 v4, v3, v5 offset1:65
	v_pack_b32_f16 v3, v33, v7
	ds_write_b32 v4, v3 offset:520
	v_pack_b32_f16 v3, v8, v23
	v_pack_b32_f16 v6, v10, v18
	;; [unrolled: 1-line block ×3, first 2 shown]
	ds_write2_b32 v34, v3, v6 offset0:26 offset1:39
	v_pack_b32_f16 v3, v38, v19
	v_add_f16_e32 v12, v12, v22
	v_pack_b32_f16 v5, v17, v9
	ds_write2_b32 v34, v4, v3 offset0:91 offset1:104
	v_pack_b32_f16 v3, v16, v11
	ds_write2_b32 v34, v5, v3 offset0:156 offset1:169
	v_pack_b32_f16 v3, v12, v21
	ds_write_b32 v34, v3 offset:208
	v_pack_b32_f16 v3, v40, v20
	v_pack_b32_f16 v2, v13, v2
	ds_write_b32 v34, v3 offset:468
	ds_write_b32 v34, v2 offset:728
	s_waitcnt lgkmcnt(0)
	; wave barrier
	s_waitcnt lgkmcnt(0)
	s_and_saveexec_b64 s[0:1], vcc
	s_cbranch_execz .LBB0_17
; %bb.16:
	v_mad_u64_u32 v[2:3], s[0:1], s2, v27, 0
	v_add_co_u32_e32 v9, vcc, s12, v0
	v_mad_u64_u32 v[3:4], s[0:1], s3, v27, v[3:4]
	v_mov_b32_e32 v4, s13
	v_addc_co_u32_e32 v10, vcc, v4, v1, vcc
	ds_read2_b32 v[4:5], v32 offset1:13
	v_lshlrev_b64 v[0:1], 2, v[2:3]
	v_mad_u64_u32 v[2:3], s[0:1], s2, v30, 0
	v_add_co_u32_e32 v0, vcc, v9, v0
	s_waitcnt lgkmcnt(0)
	v_mad_u64_u32 v[6:7], s[0:1], s3, v30, v[3:4]
	v_addc_co_u32_e32 v1, vcc, v10, v1, vcc
	v_mad_u64_u32 v[7:8], s[0:1], s2, v31, 0
	v_mov_b32_e32 v3, v6
	global_store_dword v[0:1], v4, off
	v_lshlrev_b64 v[0:1], 2, v[2:3]
	v_mov_b32_e32 v2, v8
	v_add_co_u32_e32 v0, vcc, v9, v0
	v_addc_co_u32_e32 v1, vcc, v10, v1, vcc
	v_mad_u64_u32 v[2:3], s[0:1], s3, v31, v[2:3]
	global_store_dword v[0:1], v5, off
	v_mad_u64_u32 v[4:5], s[0:1], s2, v29, 0
	v_mov_b32_e32 v8, v2
	ds_read2_b32 v[0:1], v32 offset0:26 offset1:39
	v_mad_u64_u32 v[5:6], s[0:1], s3, v29, v[5:6]
	v_lshlrev_b64 v[2:3], 2, v[7:8]
	v_mad_u64_u32 v[6:7], s[0:1], s2, v28, 0
	v_add_co_u32_e32 v2, vcc, v9, v2
	v_addc_co_u32_e32 v3, vcc, v10, v3, vcc
	s_waitcnt lgkmcnt(0)
	global_store_dword v[2:3], v0, off
	v_mov_b32_e32 v0, v7
	v_lshlrev_b64 v[2:3], 2, v[4:5]
	v_mad_u64_u32 v[4:5], s[0:1], s3, v28, v[0:1]
	v_add_co_u32_e32 v2, vcc, v9, v2
	v_addc_co_u32_e32 v3, vcc, v10, v3, vcc
	v_mov_b32_e32 v7, v4
	global_store_dword v[2:3], v1, off
	v_lshlrev_b64 v[2:3], 2, v[6:7]
	v_add_u32_e32 v6, 0x41, v27
	v_mad_u64_u32 v[4:5], s[0:1], s2, v6, 0
	ds_read2_b32 v[0:1], v32 offset0:52 offset1:65
	v_add_u32_e32 v8, 0x4e, v27
	v_mad_u64_u32 v[5:6], s[0:1], s3, v6, v[5:6]
	v_mad_u64_u32 v[6:7], s[0:1], s2, v8, 0
	v_add_co_u32_e32 v2, vcc, v9, v2
	v_addc_co_u32_e32 v3, vcc, v10, v3, vcc
	s_waitcnt lgkmcnt(0)
	global_store_dword v[2:3], v0, off
	v_mov_b32_e32 v0, v7
	v_lshlrev_b64 v[2:3], 2, v[4:5]
	v_mad_u64_u32 v[4:5], s[0:1], s3, v8, v[0:1]
	v_add_co_u32_e32 v2, vcc, v9, v2
	v_addc_co_u32_e32 v3, vcc, v10, v3, vcc
	v_mov_b32_e32 v7, v4
	global_store_dword v[2:3], v1, off
	v_lshlrev_b64 v[2:3], 2, v[6:7]
	v_add_u32_e32 v6, 0x5b, v27
	v_mad_u64_u32 v[4:5], s[0:1], s2, v6, 0
	ds_read2_b32 v[0:1], v32 offset0:78 offset1:91
	v_add_u32_e32 v8, 0x68, v27
	v_mad_u64_u32 v[5:6], s[0:1], s3, v6, v[5:6]
	;; [unrolled: 18-line block ×5, first 2 shown]
	v_mad_u64_u32 v[6:7], s[0:1], s2, v8, 0
	v_add_co_u32_e32 v2, vcc, v9, v2
	v_addc_co_u32_e32 v3, vcc, v10, v3, vcc
	s_waitcnt lgkmcnt(0)
	global_store_dword v[2:3], v0, off
	v_mov_b32_e32 v0, v7
	v_lshlrev_b64 v[2:3], 2, v[4:5]
	v_mad_u64_u32 v[4:5], s[0:1], s3, v8, v[0:1]
	v_add_co_u32_e32 v2, vcc, v9, v2
	v_addc_co_u32_e32 v3, vcc, v10, v3, vcc
	global_store_dword v[2:3], v1, off
	v_mov_b32_e32 v7, v4
	ds_read_b32 v2, v32 offset:728
	v_lshlrev_b64 v[0:1], 2, v[6:7]
	v_add_co_u32_e32 v0, vcc, v9, v0
	v_addc_co_u32_e32 v1, vcc, v10, v1, vcc
	s_waitcnt lgkmcnt(0)
	global_store_dword v[0:1], v2, off
.LBB0_17:
	s_endpgm
	.section	.rodata,"a",@progbits
	.p2align	6, 0x0
	.amdhsa_kernel fft_rtc_back_len195_factors_13_5_3_wgs_52_tpt_13_half_ip_CI_sbrr_dirReg
		.amdhsa_group_segment_fixed_size 0
		.amdhsa_private_segment_fixed_size 0
		.amdhsa_kernarg_size 88
		.amdhsa_user_sgpr_count 6
		.amdhsa_user_sgpr_private_segment_buffer 1
		.amdhsa_user_sgpr_dispatch_ptr 0
		.amdhsa_user_sgpr_queue_ptr 0
		.amdhsa_user_sgpr_kernarg_segment_ptr 1
		.amdhsa_user_sgpr_dispatch_id 0
		.amdhsa_user_sgpr_flat_scratch_init 0
		.amdhsa_user_sgpr_private_segment_size 0
		.amdhsa_uses_dynamic_stack 0
		.amdhsa_system_sgpr_private_segment_wavefront_offset 0
		.amdhsa_system_sgpr_workgroup_id_x 1
		.amdhsa_system_sgpr_workgroup_id_y 0
		.amdhsa_system_sgpr_workgroup_id_z 0
		.amdhsa_system_sgpr_workgroup_info 0
		.amdhsa_system_vgpr_workitem_id 0
		.amdhsa_next_free_vgpr 96
		.amdhsa_next_free_sgpr 29
		.amdhsa_reserve_vcc 1
		.amdhsa_reserve_flat_scratch 0
		.amdhsa_float_round_mode_32 0
		.amdhsa_float_round_mode_16_64 0
		.amdhsa_float_denorm_mode_32 3
		.amdhsa_float_denorm_mode_16_64 3
		.amdhsa_dx10_clamp 1
		.amdhsa_ieee_mode 1
		.amdhsa_fp16_overflow 0
		.amdhsa_exception_fp_ieee_invalid_op 0
		.amdhsa_exception_fp_denorm_src 0
		.amdhsa_exception_fp_ieee_div_zero 0
		.amdhsa_exception_fp_ieee_overflow 0
		.amdhsa_exception_fp_ieee_underflow 0
		.amdhsa_exception_fp_ieee_inexact 0
		.amdhsa_exception_int_div_zero 0
	.end_amdhsa_kernel
	.text
.Lfunc_end0:
	.size	fft_rtc_back_len195_factors_13_5_3_wgs_52_tpt_13_half_ip_CI_sbrr_dirReg, .Lfunc_end0-fft_rtc_back_len195_factors_13_5_3_wgs_52_tpt_13_half_ip_CI_sbrr_dirReg
                                        ; -- End function
	.section	.AMDGPU.csdata,"",@progbits
; Kernel info:
; codeLenInByte = 11652
; NumSgprs: 33
; NumVgprs: 96
; ScratchSize: 0
; MemoryBound: 0
; FloatMode: 240
; IeeeMode: 1
; LDSByteSize: 0 bytes/workgroup (compile time only)
; SGPRBlocks: 4
; VGPRBlocks: 23
; NumSGPRsForWavesPerEU: 33
; NumVGPRsForWavesPerEU: 96
; Occupancy: 2
; WaveLimiterHint : 1
; COMPUTE_PGM_RSRC2:SCRATCH_EN: 0
; COMPUTE_PGM_RSRC2:USER_SGPR: 6
; COMPUTE_PGM_RSRC2:TRAP_HANDLER: 0
; COMPUTE_PGM_RSRC2:TGID_X_EN: 1
; COMPUTE_PGM_RSRC2:TGID_Y_EN: 0
; COMPUTE_PGM_RSRC2:TGID_Z_EN: 0
; COMPUTE_PGM_RSRC2:TIDIG_COMP_CNT: 0
	.type	__hip_cuid_c6733c760dc51628,@object ; @__hip_cuid_c6733c760dc51628
	.section	.bss,"aw",@nobits
	.globl	__hip_cuid_c6733c760dc51628
__hip_cuid_c6733c760dc51628:
	.byte	0                               ; 0x0
	.size	__hip_cuid_c6733c760dc51628, 1

	.ident	"AMD clang version 19.0.0git (https://github.com/RadeonOpenCompute/llvm-project roc-6.4.0 25133 c7fe45cf4b819c5991fe208aaa96edf142730f1d)"
	.section	".note.GNU-stack","",@progbits
	.addrsig
	.addrsig_sym __hip_cuid_c6733c760dc51628
	.amdgpu_metadata
---
amdhsa.kernels:
  - .args:
      - .actual_access:  read_only
        .address_space:  global
        .offset:         0
        .size:           8
        .value_kind:     global_buffer
      - .offset:         8
        .size:           8
        .value_kind:     by_value
      - .actual_access:  read_only
        .address_space:  global
        .offset:         16
        .size:           8
        .value_kind:     global_buffer
      - .actual_access:  read_only
        .address_space:  global
        .offset:         24
        .size:           8
        .value_kind:     global_buffer
      - .offset:         32
        .size:           8
        .value_kind:     by_value
      - .actual_access:  read_only
        .address_space:  global
        .offset:         40
        .size:           8
        .value_kind:     global_buffer
      - .actual_access:  read_only
        .address_space:  global
        .offset:         48
        .size:           8
        .value_kind:     global_buffer
      - .offset:         56
        .size:           4
        .value_kind:     by_value
      - .actual_access:  read_only
        .address_space:  global
        .offset:         64
        .size:           8
        .value_kind:     global_buffer
      - .actual_access:  read_only
        .address_space:  global
        .offset:         72
        .size:           8
        .value_kind:     global_buffer
      - .address_space:  global
        .offset:         80
        .size:           8
        .value_kind:     global_buffer
    .group_segment_fixed_size: 0
    .kernarg_segment_align: 8
    .kernarg_segment_size: 88
    .language:       OpenCL C
    .language_version:
      - 2
      - 0
    .max_flat_workgroup_size: 52
    .name:           fft_rtc_back_len195_factors_13_5_3_wgs_52_tpt_13_half_ip_CI_sbrr_dirReg
    .private_segment_fixed_size: 0
    .sgpr_count:     33
    .sgpr_spill_count: 0
    .symbol:         fft_rtc_back_len195_factors_13_5_3_wgs_52_tpt_13_half_ip_CI_sbrr_dirReg.kd
    .uniform_work_group_size: 1
    .uses_dynamic_stack: false
    .vgpr_count:     96
    .vgpr_spill_count: 0
    .wavefront_size: 64
amdhsa.target:   amdgcn-amd-amdhsa--gfx906
amdhsa.version:
  - 1
  - 2
...

	.end_amdgpu_metadata
